;; amdgpu-corpus repo=ROCm/rocFFT kind=compiled arch=gfx1100 opt=O3
	.text
	.amdgcn_target "amdgcn-amd-amdhsa--gfx1100"
	.amdhsa_code_object_version 6
	.protected	bluestein_single_fwd_len1200_dim1_dp_op_CI_CI ; -- Begin function bluestein_single_fwd_len1200_dim1_dp_op_CI_CI
	.globl	bluestein_single_fwd_len1200_dim1_dp_op_CI_CI
	.p2align	8
	.type	bluestein_single_fwd_len1200_dim1_dp_op_CI_CI,@function
bluestein_single_fwd_len1200_dim1_dp_op_CI_CI: ; @bluestein_single_fwd_len1200_dim1_dp_op_CI_CI
; %bb.0:
	s_load_b128 s[8:11], s[0:1], 0x28
	v_mul_u32_u24_e32 v1, 0x36a, v0
	s_mov_b32 s2, exec_lo
	s_delay_alu instid0(VALU_DEP_1) | instskip(NEXT) | instid1(VALU_DEP_1)
	v_lshrrev_b32_e32 v1, 16, v1
	v_mad_u64_u32 v[4:5], null, s15, 3, v[1:2]
	v_mov_b32_e32 v5, 0
	s_waitcnt lgkmcnt(0)
	s_delay_alu instid0(VALU_DEP_1)
	v_cmpx_gt_u64_e64 s[8:9], v[4:5]
	s_cbranch_execz .LBB0_31
; %bb.1:
	s_clause 0x1
	s_load_b128 s[4:7], s[0:1], 0x18
	s_load_b64 s[2:3], s[0:1], 0x0
	v_mul_lo_u16 v1, 0x4b, v1
	v_mov_b32_e32 v127, v4
	s_delay_alu instid0(VALU_DEP_2) | instskip(NEXT) | instid1(VALU_DEP_2)
	v_sub_nc_u16 v2, v0, v1
	v_mul_hi_u32 v126, 0xaaaaaaab, v127
	s_delay_alu instid0(VALU_DEP_2) | instskip(NEXT) | instid1(VALU_DEP_2)
	v_and_b32_e32 v9, 0xffff, v2
	v_lshrrev_b32_e32 v126, 1, v126
	s_delay_alu instid0(VALU_DEP_2)
	v_lshlrev_b32_e32 v3, 4, v9
	s_waitcnt lgkmcnt(0)
	s_load_b128 s[12:15], s[4:5], 0x0
	s_clause 0x3
	global_load_b128 v[128:131], v3, s[2:3]
	global_load_b128 v[132:135], v3, s[2:3] offset:1200
	global_load_b128 v[136:139], v3, s[2:3] offset:3840
	;; [unrolled: 1-line block ×3, first 2 shown]
	v_add_co_u32 v80, s4, s2, v3
	s_delay_alu instid0(VALU_DEP_1) | instskip(SKIP_1) | instid1(VALU_DEP_3)
	v_add_co_ci_u32_e64 v81, null, s3, 0, s4
	v_lshl_add_u32 v126, v126, 1, v126
	v_add_co_u32 v12, vcc_lo, 0x1000, v80
	s_delay_alu instid0(VALU_DEP_3)
	v_add_co_ci_u32_e32 v13, vcc_lo, 0, v81, vcc_lo
	v_add_co_u32 v10, vcc_lo, 0x2000, v80
	v_add_co_ci_u32_e32 v11, vcc_lo, 0, v81, vcc_lo
	v_add_co_u32 v58, vcc_lo, 0x3000, v80
	v_add_co_ci_u32_e32 v59, vcc_lo, 0, v81, vcc_lo
	s_waitcnt lgkmcnt(0)
	v_mad_u64_u32 v[0:1], null, s14, v4, 0
	v_mad_u64_u32 v[4:5], null, s12, v9, 0
	v_add_co_u32 v60, vcc_lo, 0x4000, v80
	v_add_co_ci_u32_e32 v61, vcc_lo, 0, v81, vcc_lo
	s_delay_alu instid0(VALU_DEP_4)
	v_mad_u64_u32 v[6:7], null, s15, v127, v[1:2]
	s_mul_i32 s3, s13, 0xf0
	s_mul_hi_u32 s5, s12, 0xf0
	s_mul_i32 s2, s12, 0xf0
	s_add_i32 s3, s5, s3
	s_clause 0x4
	global_load_b128 v[172:175], v[12:13], off offset:3584
	global_load_b128 v[148:151], v[10:11], off offset:688
	;; [unrolled: 1-line block ×5, first 2 shown]
	v_mad_u64_u32 v[7:8], null, s13, v9, v[5:6]
	v_mov_b32_e32 v1, v6
	s_clause 0x1
	scratch_store_b32 off, v9, off
	scratch_store_b64 off, v[12:13], off offset:72
	s_clause 0x2
	global_load_b128 v[156:159], v[12:13], off offset:944
	global_load_b128 v[164:167], v[12:13], off offset:2144
	;; [unrolled: 1-line block ×3, first 2 shown]
	v_lshlrev_b64 v[0:1], 4, v[0:1]
	v_mov_b32_e32 v5, v7
	s_mul_hi_u32 s9, s12, 0xfffffc8b
	s_mul_i32 s8, s13, 0xfffffc8b
	s_mul_i32 s4, s12, 0xfffffc8b
	scratch_store_b64 off, v[10:11], off offset:48 ; 8-byte Folded Spill
	v_lshlrev_b64 v[4:5], 4, v[4:5]
	v_add_co_u32 v0, vcc_lo, s10, v0
	v_add_co_ci_u32_e32 v1, vcc_lo, s11, v1, vcc_lo
	s_lshl_b64 s[10:11], s[2:3], 4
	s_delay_alu instid0(VALU_DEP_2) | instskip(NEXT) | instid1(VALU_DEP_2)
	v_add_co_u32 v0, vcc_lo, v0, v4
	v_add_co_ci_u32_e32 v1, vcc_lo, v1, v5, vcc_lo
	s_sub_i32 s2, s9, s12
	s_delay_alu instid0(VALU_DEP_2) | instskip(NEXT) | instid1(VALU_DEP_2)
	v_add_co_u32 v8, vcc_lo, v0, s10
	v_add_co_ci_u32_e32 v9, vcc_lo, s11, v1, vcc_lo
	s_add_i32 s5, s2, s8
	s_delay_alu instid0(VALU_DEP_2) | instskip(NEXT) | instid1(VALU_DEP_2)
	v_add_co_u32 v12, vcc_lo, v8, s10
	v_add_co_ci_u32_e32 v13, vcc_lo, s11, v9, vcc_lo
	s_lshl_b64 s[2:3], s[4:5], 4
	s_delay_alu instid0(VALU_DEP_2) | instskip(NEXT) | instid1(VALU_DEP_2)
	v_add_co_u32 v16, vcc_lo, v12, s10
	v_add_co_ci_u32_e32 v17, vcc_lo, s11, v13, vcc_lo
	global_load_b128 v[168:171], v[10:11], off offset:1888
	v_add_co_u32 v20, vcc_lo, v16, s10
	v_add_co_ci_u32_e32 v21, vcc_lo, s11, v17, vcc_lo
	s_clause 0x1
	global_load_b128 v[4:7], v[0:1], off
	global_load_b128 v[8:11], v[8:9], off
	v_add_co_u32 v0, vcc_lo, v20, s2
	v_add_co_ci_u32_e32 v1, vcc_lo, s3, v21, vcc_lo
	s_clause 0x1
	global_load_b128 v[12:15], v[12:13], off
	global_load_b128 v[16:19], v[16:17], off
	v_add_co_u32 v28, vcc_lo, v0, s10
	v_add_co_ci_u32_e32 v29, vcc_lo, s11, v1, vcc_lo
	global_load_b128 v[24:27], v[0:1], off
	v_add_co_u32 v32, vcc_lo, v28, s10
	v_add_co_ci_u32_e32 v33, vcc_lo, s11, v29, vcc_lo
	scratch_store_b64 off, v[58:59], off offset:40 ; 8-byte Folded Spill
	v_add_co_u32 v0, vcc_lo, v32, s10
	v_add_co_ci_u32_e32 v1, vcc_lo, s11, v33, vcc_lo
	global_load_b128 v[20:23], v[20:21], off
	v_add_co_u32 v40, vcc_lo, v0, s10
	v_add_co_ci_u32_e32 v41, vcc_lo, s11, v1, vcc_lo
	global_load_b128 v[36:39], v[0:1], off
	v_add_co_u32 v44, vcc_lo, v40, s2
	v_add_co_ci_u32_e32 v45, vcc_lo, s3, v41, vcc_lo
	global_load_b128 v[28:31], v[28:29], off
	v_add_co_u32 v0, vcc_lo, v44, s10
	v_add_co_ci_u32_e32 v1, vcc_lo, s11, v45, vcc_lo
	global_load_b128 v[32:35], v[32:33], off
	v_add_co_u32 v52, vcc_lo, v0, s10
	v_add_co_ci_u32_e32 v53, vcc_lo, s11, v1, vcc_lo
	global_load_b128 v[48:51], v[0:1], off
	v_add_co_u32 v56, vcc_lo, v52, s10
	v_add_co_ci_u32_e32 v57, vcc_lo, s11, v53, vcc_lo
	global_load_b128 v[52:55], v[52:53], off
	v_add_co_u32 v0, vcc_lo, v56, s10
	v_add_co_ci_u32_e32 v1, vcc_lo, s11, v57, vcc_lo
	global_load_b128 v[40:43], v[40:41], off
	global_load_b128 v[44:47], v[44:45], off
	global_load_b128 v[184:187], v[58:59], off offset:1632
	global_load_b128 v[56:59], v[56:57], off
	scratch_store_b64 off, v[60:61], off offset:4 ; 8-byte Folded Spill
	global_load_b128 v[180:183], v[60:61], off offset:1376
	global_load_b128 v[60:63], v[0:1], off
	s_load_b64 s[8:9], s[0:1], 0x38
	s_load_b128 s[4:7], s[6:7], 0x0
	v_cmp_gt_u16_e32 vcc_lo, 15, v2
	s_waitcnt vmcnt(28)
	scratch_store_b128 off, v[132:135], off offset:56 ; 16-byte Folded Spill
	s_waitcnt vmcnt(27)
	scratch_store_b128 off, v[136:139], off offset:80 ; 16-byte Folded Spill
	;; [unrolled: 2-line block ×5, first 2 shown]
	s_waitcnt vmcnt(22)
	s_clause 0x1
	scratch_store_b128 off, v[160:163], off offset:176
	scratch_store_b128 off, v[144:147], off offset:112
	s_waitcnt vmcnt(21)
	scratch_store_b128 off, v[152:155], off offset:144 ; 16-byte Folded Spill
	s_waitcnt vmcnt(20)
	scratch_store_b128 off, v[156:159], off offset:160 ; 16-byte Folded Spill
	s_waitcnt vmcnt(18)
	s_clause 0x1
	scratch_store_b128 off, v[176:179], off offset:240
	scratch_store_b128 off, v[164:167], off offset:192
	s_waitcnt vmcnt(17)
	scratch_store_b128 off, v[168:171], off offset:208 ; 16-byte Folded Spill
	s_waitcnt vmcnt(16)
	v_mul_f64 v[64:65], v[6:7], v[130:131]
	v_mul_f64 v[66:67], v[4:5], v[130:131]
	s_waitcnt vmcnt(15)
	v_mul_f64 v[68:69], v[10:11], v[138:139]
	v_mul_f64 v[70:71], v[8:9], v[138:139]
	s_waitcnt vmcnt(14)
	v_mul_f64 v[72:73], v[14:15], v[174:175]
	s_waitcnt vmcnt(13)
	v_mul_f64 v[76:77], v[18:19], v[178:179]
	v_mul_f64 v[78:79], v[16:17], v[178:179]
	;; [unrolled: 1-line block ×3, first 2 shown]
	s_waitcnt vmcnt(12)
	v_mul_f64 v[86:87], v[26:27], v[134:135]
	v_mul_f64 v[88:89], v[24:25], v[134:135]
	s_waitcnt vmcnt(11)
	v_mul_f64 v[82:83], v[22:23], v[162:163]
	v_mul_f64 v[84:85], v[20:21], v[162:163]
	;; [unrolled: 3-line block ×5, first 2 shown]
	v_fma_f64 v[4:5], v[4:5], v[128:129], v[64:65]
	v_fma_f64 v[6:7], v[6:7], v[128:129], -v[66:67]
	v_fma_f64 v[8:9], v[8:9], v[136:137], v[68:69]
	s_waitcnt vmcnt(7)
	v_mul_f64 v[110:111], v[50:51], v[166:167]
	v_mul_f64 v[112:113], v[48:49], v[166:167]
	v_fma_f64 v[12:13], v[12:13], v[172:173], v[72:73]
	v_fma_f64 v[16:17], v[16:17], v[176:177], v[76:77]
	v_fma_f64 v[18:19], v[18:19], v[176:177], -v[78:79]
	s_waitcnt vmcnt(6)
	v_mul_f64 v[114:115], v[54:55], v[170:171]
	v_mul_f64 v[116:117], v[52:53], v[170:171]
	v_fma_f64 v[14:15], v[14:15], v[172:173], -v[74:75]
	v_fma_f64 v[24:25], v[24:25], v[132:133], v[86:87]
	v_fma_f64 v[26:27], v[26:27], v[132:133], -v[88:89]
	s_waitcnt vmcnt(5)
	v_mul_f64 v[102:103], v[42:43], v[154:155]
	v_mul_f64 v[104:105], v[40:41], v[154:155]
	s_waitcnt vmcnt(2)
	v_mul_f64 v[118:119], v[58:59], v[186:187]
	v_mul_f64 v[120:121], v[56:57], v[186:187]
	;; [unrolled: 3-line block ×3, first 2 shown]
	v_mul_f64 v[106:107], v[46:47], v[142:143]
	v_mul_f64 v[108:109], v[44:45], v[142:143]
	v_fma_f64 v[20:21], v[20:21], v[160:161], v[82:83]
	v_fma_f64 v[22:23], v[22:23], v[160:161], -v[84:85]
	v_fma_f64 v[10:11], v[10:11], v[136:137], -v[70:71]
	v_mov_b32_e32 v64, v127
	scratch_store_b128 off, v[128:131], off offset:24 ; 16-byte Folded Spill
	v_fma_f64 v[36:37], v[36:37], v[144:145], v[98:99]
	v_fma_f64 v[38:39], v[38:39], v[144:145], -v[100:101]
	s_clause 0x2
	scratch_store_b128 off, v[184:187], off offset:272
	scratch_store_b128 off, v[180:183], off offset:256
	scratch_store_b64 off, v[64:65], off offset:16
	v_fma_f64 v[28:29], v[28:29], v[156:157], v[90:91]
	v_fma_f64 v[30:31], v[30:31], v[156:157], -v[92:93]
	v_sub_nc_u32_e32 v64, v127, v126
	v_fma_f64 v[32:33], v[32:33], v[148:149], v[94:95]
	v_fma_f64 v[34:35], v[34:35], v[148:149], -v[96:97]
	s_delay_alu instid0(VALU_DEP_3) | instskip(SKIP_2) | instid1(VALU_DEP_3)
	v_mul_u32_u24_e32 v64, 0x4b0, v64
	v_fma_f64 v[48:49], v[48:49], v[164:165], v[110:111]
	v_fma_f64 v[50:51], v[50:51], v[164:165], -v[112:113]
	v_lshlrev_b32_e32 v215, 4, v64
	v_fma_f64 v[52:53], v[52:53], v[168:169], v[114:115]
	v_fma_f64 v[54:55], v[54:55], v[168:169], -v[116:117]
	s_delay_alu instid0(VALU_DEP_3)
	v_add_nc_u32_e32 v82, v3, v215
	v_fma_f64 v[40:41], v[40:41], v[152:153], v[102:103]
	v_fma_f64 v[42:43], v[42:43], v[152:153], -v[104:105]
	v_fma_f64 v[56:57], v[56:57], v[184:185], v[118:119]
	v_fma_f64 v[58:59], v[58:59], v[184:185], -v[120:121]
	;; [unrolled: 2-line block ×4, first 2 shown]
	ds_store_b128 v82, v[4:7]
	ds_store_b128 v82, v[24:27] offset:1200
	ds_store_b128 v82, v[12:15] offset:7680
	;; [unrolled: 1-line block ×14, first 2 shown]
	s_and_saveexec_b32 s12, vcc_lo
	s_cbranch_execz .LBB0_3
; %bb.2:
	v_add_co_u32 v4, s2, v0, s2
	s_delay_alu instid0(VALU_DEP_1) | instskip(NEXT) | instid1(VALU_DEP_2)
	v_add_co_ci_u32_e64 v5, s2, s3, v1, s2
	v_add_co_u32 v12, s2, v4, s10
	s_delay_alu instid0(VALU_DEP_1) | instskip(SKIP_4) | instid1(VALU_DEP_1)
	v_add_co_ci_u32_e64 v13, s2, s11, v5, s2
	global_load_b128 v[0:3], v[80:81], off offset:3600
	global_load_b128 v[4:7], v[4:5], off
	global_load_b128 v[8:11], v[12:13], off
	v_add_co_u32 v16, s2, v12, s10
	v_add_co_ci_u32_e64 v17, s2, s11, v13, s2
	s_clause 0x1
	scratch_load_b64 v[12:13], off, off offset:72
	scratch_load_b64 v[20:21], off, off offset:48
	v_add_co_u32 v24, s2, v16, s10
	s_delay_alu instid0(VALU_DEP_1) | instskip(SKIP_2) | instid1(VALU_DEP_1)
	v_add_co_ci_u32_e64 v25, s2, s11, v17, s2
	global_load_b128 v[16:19], v[16:17], off
	v_add_co_u32 v36, s2, v24, s10
	v_add_co_ci_u32_e64 v37, s2, s11, v25, s2
	s_waitcnt vmcnt(4)
	v_mul_f64 v[40:41], v[6:7], v[2:3]
	v_mul_f64 v[42:43], v[4:5], v[2:3]
	s_waitcnt vmcnt(2)
	global_load_b128 v[12:15], v[12:13], off offset:3344
	s_waitcnt vmcnt(2)
	global_load_b128 v[20:23], v[20:21], off offset:3088
	global_load_b128 v[24:27], v[24:25], off
	scratch_load_b64 v[28:29], off, off offset:40 ; 8-byte Folded Reload
	s_waitcnt vmcnt(0)
	global_load_b128 v[28:31], v[28:29], off offset:2832
	scratch_load_b64 v[32:33], off, off offset:4 ; 8-byte Folded Reload
	v_mul_f64 v[44:45], v[10:11], v[14:15]
	v_mul_f64 v[14:15], v[8:9], v[14:15]
	;; [unrolled: 1-line block ×4, first 2 shown]
	v_fma_f64 v[2:3], v[4:5], v[0:1], v[40:41]
	v_fma_f64 v[4:5], v[6:7], v[0:1], -v[42:43]
	s_waitcnt vmcnt(0)
	global_load_b128 v[32:35], v[32:33], off offset:2576
	global_load_b128 v[36:39], v[36:37], off
	v_mul_f64 v[48:49], v[26:27], v[30:31]
	v_mul_f64 v[30:31], v[24:25], v[30:31]
	v_fma_f64 v[6:7], v[8:9], v[12:13], v[44:45]
	v_fma_f64 v[8:9], v[10:11], v[12:13], -v[14:15]
	v_fma_f64 v[10:11], v[16:17], v[20:21], v[46:47]
	v_fma_f64 v[12:13], v[18:19], v[20:21], -v[22:23]
	;; [unrolled: 2-line block ×3, first 2 shown]
	s_waitcnt vmcnt(0)
	v_mul_f64 v[50:51], v[38:39], v[34:35]
	v_mul_f64 v[34:35], v[36:37], v[34:35]
	s_delay_alu instid0(VALU_DEP_2) | instskip(NEXT) | instid1(VALU_DEP_2)
	v_fma_f64 v[18:19], v[36:37], v[32:33], v[50:51]
	v_fma_f64 v[20:21], v[38:39], v[32:33], -v[34:35]
	ds_store_b128 v82, v[2:5] offset:3600
	ds_store_b128 v82, v[6:9] offset:7440
	ds_store_b128 v82, v[10:13] offset:11280
	ds_store_b128 v82, v[14:17] offset:15120
	ds_store_b128 v82, v[18:21] offset:18960
.LBB0_3:
	s_or_b32 exec_lo, exec_lo, s12
	s_waitcnt lgkmcnt(0)
	s_waitcnt_vscnt null, 0x0
	s_barrier
	buffer_gl0_inv
	ds_load_b128 v[0:3], v82
	ds_load_b128 v[4:7], v82 offset:1200
	ds_load_b128 v[72:75], v82 offset:7680
	;; [unrolled: 1-line block ×14, first 2 shown]
                                        ; implicit-def: $vgpr12_vgpr13
                                        ; implicit-def: $vgpr20_vgpr21
                                        ; implicit-def: $vgpr32_vgpr33
                                        ; implicit-def: $vgpr40_vgpr41
                                        ; implicit-def: $vgpr44_vgpr45
	s_and_saveexec_b32 s2, vcc_lo
	s_cbranch_execz .LBB0_5
; %bb.4:
	ds_load_b128 v[12:15], v82 offset:3600
	ds_load_b128 v[20:23], v82 offset:7440
	;; [unrolled: 1-line block ×5, first 2 shown]
.LBB0_5:
	s_or_b32 exec_lo, exec_lo, s2
	s_waitcnt lgkmcnt(8)
	v_add_f64 v[83:84], v[0:1], v[76:77]
	v_add_f64 v[85:86], v[2:3], v[78:79]
	s_waitcnt lgkmcnt(4)
	v_add_f64 v[87:88], v[72:73], v[68:69]
	v_add_f64 v[89:90], v[74:75], -v[70:71]
	v_add_f64 v[91:92], v[76:77], -v[72:73]
	;; [unrolled: 1-line block ×3, first 2 shown]
	v_add_f64 v[95:96], v[74:75], v[70:71]
	v_add_f64 v[97:98], v[78:79], -v[74:75]
	v_add_f64 v[99:100], v[78:79], -v[66:67]
	v_add_f64 v[101:102], v[76:77], v[64:65]
	v_add_f64 v[76:77], v[76:77], -v[64:65]
	v_add_f64 v[103:104], v[64:65], -v[68:69]
	;; [unrolled: 1-line block ×3, first 2 shown]
	s_waitcnt lgkmcnt(2)
	v_add_f64 v[109:110], v[54:55], -v[58:59]
	v_add_f64 v[111:112], v[60:61], -v[52:53]
	;; [unrolled: 1-line block ×3, first 2 shown]
	v_add_f64 v[115:116], v[54:55], v[58:59]
	v_add_f64 v[117:118], v[62:63], -v[54:55]
	v_add_f64 v[119:120], v[62:63], -v[50:51]
	v_add_f64 v[121:122], v[60:61], v[48:49]
	v_add_f64 v[123:124], v[60:61], -v[48:49]
	v_add_f64 v[125:126], v[62:63], v[50:51]
	v_add_f64 v[107:108], v[52:53], v[56:57]
	s_waitcnt lgkmcnt(1)
	v_add_f64 v[127:128], v[36:37], v[24:25]
	v_add_f64 v[129:130], v[38:39], -v[26:27]
	v_add_f64 v[131:132], v[28:29], -v[36:37]
	v_add_f64 v[133:134], v[36:37], -v[28:29]
	v_add_f64 v[135:136], v[38:39], v[26:27]
	v_add_f64 v[137:138], v[36:37], -v[24:25]
	v_add_f64 v[139:140], v[30:31], -v[38:39]
	v_add_f64 v[141:142], v[38:39], -v[30:31]
	s_waitcnt lgkmcnt(0)
	v_add_f64 v[143:144], v[30:31], -v[18:19]
	v_add_f64 v[145:146], v[28:29], -v[16:17]
	;; [unrolled: 1-line block ×7, first 2 shown]
	v_add_f64 v[83:84], v[83:84], v[72:73]
	v_add_f64 v[85:86], v[85:86], v[74:75]
	v_add_f64 v[72:73], v[72:73], -v[68:69]
	v_add_f64 v[74:75], v[74:75], -v[78:79]
	v_add_f64 v[78:79], v[78:79], v[66:67]
	v_add_f64 v[157:158], v[20:21], -v[32:33]
	v_add_f64 v[159:160], v[32:33], -v[20:21]
	;; [unrolled: 1-line block ×7, first 2 shown]
	s_mov_b32 s14, 0x134454ff
	s_mov_b32 s15, 0x3fee6f0e
	;; [unrolled: 1-line block ×10, first 2 shown]
	v_add_f64 v[171:172], v[44:45], -v[40:41]
	v_add_f64 v[173:174], v[40:41], -v[44:45]
	;; [unrolled: 1-line block ×4, first 2 shown]
	v_add_f64 v[83:84], v[83:84], v[68:69]
	v_add_f64 v[85:86], v[85:86], v[70:71]
	v_add_f64 v[68:69], v[68:69], -v[64:65]
	v_add_f64 v[70:71], v[70:71], -v[66:67]
	s_delay_alu instid0(VALU_DEP_4) | instskip(NEXT) | instid1(VALU_DEP_4)
	v_add_f64 v[64:65], v[83:84], v[64:65]
	v_add_f64 v[66:67], v[85:86], v[66:67]
	;; [unrolled: 1-line block ×4, first 2 shown]
	s_delay_alu instid0(VALU_DEP_2) | instskip(NEXT) | instid1(VALU_DEP_2)
	v_add_f64 v[83:84], v[83:84], v[52:53]
	v_add_f64 v[85:86], v[85:86], v[54:55]
	v_add_f64 v[54:55], v[54:55], -v[62:63]
	v_add_f64 v[52:53], v[52:53], -v[56:57]
	s_delay_alu instid0(VALU_DEP_4) | instskip(NEXT) | instid1(VALU_DEP_4)
	v_add_f64 v[60:61], v[83:84], v[56:57]
	v_add_f64 v[62:63], v[85:86], v[58:59]
	v_add_f64 v[83:84], v[48:49], -v[56:57]
	v_add_f64 v[56:57], v[56:57], -v[48:49]
	;; [unrolled: 1-line block ×4, first 2 shown]
	v_add_f64 v[48:49], v[60:61], v[48:49]
	v_add_f64 v[50:51], v[62:63], v[50:51]
	;; [unrolled: 1-line block ×5, first 2 shown]
	s_delay_alu instid0(VALU_DEP_3) | instskip(NEXT) | instid1(VALU_DEP_3)
	v_add_f64 v[60:61], v[60:61], v[36:37]
	v_add_f64 v[62:63], v[62:63], v[38:39]
	;; [unrolled: 1-line block ×4, first 2 shown]
	s_delay_alu instid0(VALU_DEP_4) | instskip(NEXT) | instid1(VALU_DEP_4)
	v_add_f64 v[30:31], v[60:61], v[24:25]
	v_add_f64 v[38:39], v[62:63], v[26:27]
	;; [unrolled: 1-line block ×4, first 2 shown]
	s_delay_alu instid0(VALU_DEP_4) | instskip(NEXT) | instid1(VALU_DEP_4)
	v_add_f64 v[16:17], v[30:31], v[16:17]
	v_add_f64 v[18:19], v[38:39], v[18:19]
	;; [unrolled: 1-line block ×8, first 2 shown]
	v_fma_f64 v[32:33], v[87:88], -0.5, v[0:1]
	v_fma_f64 v[34:35], v[95:96], -0.5, v[2:3]
	;; [unrolled: 1-line block ×8, first 2 shown]
	v_add_f64 v[20:21], v[20:21], v[40:41]
	v_add_f64 v[22:23], v[22:23], v[42:43]
	v_fma_f64 v[95:96], v[24:25], -0.5, v[12:13]
	v_fma_f64 v[12:13], v[30:31], -0.5, v[12:13]
	v_fma_f64 v[28:29], v[99:100], s[16:17], v[32:33]
	v_fma_f64 v[30:31], v[76:77], s[14:15], v[34:35]
	v_fma_f64 v[101:102], v[26:27], -0.5, v[14:15]
	v_add_f64 v[24:25], v[91:92], v[103:104]
	v_add_f64 v[26:27], v[97:98], v[105:106]
	v_fma_f64 v[40:41], v[107:108], -0.5, v[4:5]
	v_fma_f64 v[42:43], v[115:116], -0.5, v[6:7]
	;; [unrolled: 1-line block ×5, first 2 shown]
	v_add_f64 v[60:61], v[20:21], v[44:45]
	v_add_f64 v[62:63], v[22:23], v[46:47]
	v_fma_f64 v[20:21], v[99:100], s[14:15], v[32:33]
	v_fma_f64 v[22:23], v[76:77], s[16:17], v[34:35]
	;; [unrolled: 1-line block ×4, first 2 shown]
	v_add_f64 v[32:33], v[93:94], v[68:69]
	v_add_f64 v[34:35], v[74:75], v[70:71]
	v_fma_f64 v[36:37], v[119:120], s[14:15], v[40:41]
	v_fma_f64 v[38:39], v[123:124], s[16:17], v[42:43]
	;; [unrolled: 1-line block ×18, first 2 shown]
	s_delay_alu instid0(VALU_DEP_4) | instskip(NEXT) | instid1(VALU_DEP_4)
	v_fma_f64 v[28:29], v[99:100], s[2:3], v[28:29]
	v_fma_f64 v[0:1], v[99:100], s[10:11], v[0:1]
	s_delay_alu instid0(VALU_DEP_4) | instskip(NEXT) | instid1(VALU_DEP_4)
	v_fma_f64 v[30:31], v[76:77], s[10:11], v[30:31]
	v_fma_f64 v[2:3], v[76:77], s[2:3], v[2:3]
	;; [unrolled: 3-line block ×4, first 2 shown]
	v_add_f64 v[0:1], v[111:112], v[83:84]
	v_add_f64 v[2:3], v[117:118], v[85:86]
	;; [unrolled: 1-line block ×3, first 2 shown]
	s_delay_alu instid0(VALU_DEP_3) | instskip(NEXT) | instid1(VALU_DEP_3)
	v_fma_f64 v[36:37], v[0:1], s[12:13], v[36:37]
	v_fma_f64 v[38:39], v[2:3], s[12:13], v[38:39]
	;; [unrolled: 1-line block ×8, first 2 shown]
	v_add_f64 v[52:53], v[113:114], v[56:57]
	v_fma_f64 v[0:1], v[119:120], s[2:3], v[0:1]
	v_fma_f64 v[2:3], v[119:120], s[10:11], v[2:3]
	;; [unrolled: 1-line block ×4, first 2 shown]
	s_delay_alu instid0(VALU_DEP_4) | instskip(NEXT) | instid1(VALU_DEP_4)
	v_fma_f64 v[44:45], v[52:53], s[12:13], v[0:1]
	v_fma_f64 v[52:53], v[52:53], s[12:13], v[2:3]
	s_delay_alu instid0(VALU_DEP_4) | instskip(NEXT) | instid1(VALU_DEP_4)
	v_fma_f64 v[46:47], v[54:55], s[12:13], v[4:5]
	v_fma_f64 v[54:55], v[54:55], s[12:13], v[6:7]
	;; [unrolled: 1-line block ×4, first 2 shown]
	v_add_f64 v[0:1], v[131:132], v[147:148]
	v_add_f64 v[2:3], v[139:140], v[151:152]
	s_delay_alu instid0(VALU_DEP_4) | instskip(NEXT) | instid1(VALU_DEP_4)
	v_fma_f64 v[4:5], v[129:130], s[2:3], v[4:5]
	v_fma_f64 v[6:7], v[137:138], s[10:11], v[6:7]
	s_delay_alu instid0(VALU_DEP_2) | instskip(NEXT) | instid1(VALU_DEP_2)
	v_fma_f64 v[56:57], v[0:1], s[12:13], v[4:5]
	v_fma_f64 v[58:59], v[2:3], s[12:13], v[6:7]
	;; [unrolled: 1-line block ×4, first 2 shown]
	v_add_f64 v[87:88], v[165:166], v[177:178]
	s_delay_alu instid0(VALU_DEP_3) | instskip(NEXT) | instid1(VALU_DEP_3)
	v_fma_f64 v[4:5], v[129:130], s[10:11], v[4:5]
	v_fma_f64 v[6:7], v[137:138], s[2:3], v[6:7]
	s_delay_alu instid0(VALU_DEP_2) | instskip(NEXT) | instid1(VALU_DEP_2)
	v_fma_f64 v[68:69], v[0:1], s[12:13], v[4:5]
	v_fma_f64 v[70:71], v[2:3], s[12:13], v[6:7]
	;; [unrolled: 1-line block ×6, first 2 shown]
	v_add_f64 v[8:9], v[133:134], v[149:150]
	v_add_f64 v[10:11], v[141:142], v[153:154]
	v_fma_f64 v[0:1], v[143:144], s[2:3], v[0:1]
	v_fma_f64 v[2:3], v[143:144], s[10:11], v[2:3]
	;; [unrolled: 1-line block ×4, first 2 shown]
	s_delay_alu instid0(VALU_DEP_4) | instskip(NEXT) | instid1(VALU_DEP_4)
	v_fma_f64 v[72:73], v[8:9], s[12:13], v[0:1]
	v_fma_f64 v[76:77], v[8:9], s[12:13], v[2:3]
	s_delay_alu instid0(VALU_DEP_4) | instskip(NEXT) | instid1(VALU_DEP_4)
	v_fma_f64 v[74:75], v[10:11], s[12:13], v[4:5]
	v_fma_f64 v[78:79], v[10:11], s[12:13], v[6:7]
	;; [unrolled: 1-line block ×6, first 2 shown]
	v_add_f64 v[4:5], v[157:158], v[171:172]
	v_add_f64 v[6:7], v[163:164], v[175:176]
	v_fma_f64 v[0:1], v[167:168], s[2:3], v[0:1]
	v_fma_f64 v[2:3], v[169:170], s[10:11], v[2:3]
	;; [unrolled: 1-line block ×4, first 2 shown]
	s_delay_alu instid0(VALU_DEP_4) | instskip(NEXT) | instid1(VALU_DEP_4)
	v_fma_f64 v[0:1], v[4:5], s[12:13], v[0:1]
	v_fma_f64 v[2:3], v[6:7], s[12:13], v[2:3]
	s_delay_alu instid0(VALU_DEP_4) | instskip(NEXT) | instid1(VALU_DEP_4)
	v_fma_f64 v[4:5], v[4:5], s[12:13], v[8:9]
	v_fma_f64 v[6:7], v[6:7], s[12:13], v[10:11]
	;; [unrolled: 1-line block ×6, first 2 shown]
	s_delay_alu instid0(VALU_DEP_4) | instskip(NEXT) | instid1(VALU_DEP_4)
	v_fma_f64 v[8:9], v[155:156], s[2:3], v[8:9]
	v_fma_f64 v[85:86], v[155:156], s[10:11], v[10:11]
	s_delay_alu instid0(VALU_DEP_4) | instskip(NEXT) | instid1(VALU_DEP_4)
	v_fma_f64 v[10:11], v[161:162], s[10:11], v[12:13]
	v_fma_f64 v[14:15], v[161:162], s[2:3], v[14:15]
	s_load_b64 s[2:3], s[0:1], 0x8
	s_delay_alu instid0(VALU_DEP_4) | instskip(NEXT) | instid1(VALU_DEP_4)
	v_fma_f64 v[8:9], v[83:84], s[12:13], v[8:9]
	v_fma_f64 v[12:13], v[83:84], s[12:13], v[85:86]
	scratch_load_b32 v84, off, off          ; 4-byte Folded Reload
	v_fma_f64 v[10:11], v[87:88], s[12:13], v[10:11]
	v_fma_f64 v[14:15], v[87:88], s[12:13], v[14:15]
	s_waitcnt vmcnt(0) lgkmcnt(0)
	s_barrier
	buffer_gl0_inv
	v_mul_lo_u16 v83, v84, 5
	v_add_co_u32 v152, s10, 0x4b, v84
	v_add_co_u32 v208, s11, 0x96, v84
	s_delay_alu instid0(VALU_DEP_3) | instskip(SKIP_1) | instid1(VALU_DEP_2)
	v_and_b32_e32 v83, 0xffff, v83
	v_add_co_u32 v216, null, 0xe1, v84
	v_lshl_add_u32 v83, v83, 4, v215
	ds_store_b128 v83, v[64:67]
	ds_store_b128 v83, v[20:23] offset:16
	ds_store_b128 v83, v[28:31] offset:32
	;; [unrolled: 1-line block ×3, first 2 shown]
	v_mul_u32_u24_e32 v20, 5, v152
	scratch_store_b32 off, v83, off offset:340 ; 4-byte Folded Spill
	ds_store_b128 v83, v[24:27] offset:64
	v_lshl_add_u32 v20, v20, 4, v215
	ds_store_b128 v20, v[48:51]
	ds_store_b128 v20, v[36:39] offset:16
	ds_store_b128 v20, v[44:47] offset:32
	;; [unrolled: 1-line block ×3, first 2 shown]
	scratch_store_b32 off, v20, off offset:344 ; 4-byte Folded Spill
	ds_store_b128 v20, v[40:43] offset:64
	v_mul_u32_u24_e32 v20, 5, v208
	s_delay_alu instid0(VALU_DEP_1)
	v_lshl_add_u32 v20, v20, 4, v215
	ds_store_b128 v20, v[16:19]
	ds_store_b128 v20, v[56:59] offset:16
	ds_store_b128 v20, v[72:75] offset:32
	v_add_co_ci_u32_e64 v16, null, 0, 0, s10
	v_add_co_ci_u32_e64 v16, null, 0, 0, s11
	v_mul_u32_u24_e32 v16, 5, v216
	ds_store_b128 v20, v[76:79] offset:48
	ds_store_b128 v20, v[68:71] offset:64
	s_clause 0x1
	scratch_store_b32 off, v20, off offset:288
	scratch_store_b32 off, v16, off offset:368
	s_and_saveexec_b32 s0, vcc_lo
	s_cbranch_execz .LBB0_7
; %bb.6:
	v_mul_u32_u24_e32 v16, 5, v216
	s_delay_alu instid0(VALU_DEP_1)
	v_lshl_add_u32 v16, v16, 4, v215
	ds_store_b128 v16, v[60:63]
	ds_store_b128 v16, v[0:3] offset:16
	ds_store_b128 v16, v[8:11] offset:32
	;; [unrolled: 1-line block ×4, first 2 shown]
.LBB0_7:
	s_or_b32 exec_lo, exec_lo, s0
	s_waitcnt lgkmcnt(0)
	s_waitcnt_vscnt null, 0x0
	s_barrier
	buffer_gl0_inv
	ds_load_b128 v[72:75], v82
	ds_load_b128 v[68:71], v82 offset:1200
	ds_load_b128 v[52:55], v82 offset:7680
	;; [unrolled: 1-line block ×14, first 2 shown]
	s_and_saveexec_b32 s0, vcc_lo
	s_cbranch_execz .LBB0_9
; %bb.8:
	ds_load_b128 v[60:63], v82 offset:3600
	ds_load_b128 v[0:3], v82 offset:7440
	;; [unrolled: 1-line block ×5, first 2 shown]
.LBB0_9:
	s_or_b32 exec_lo, exec_lo, s0
	scratch_load_b32 v84, off, off          ; 4-byte Folded Reload
	s_mov_b32 s0, 0x134454ff
	s_mov_b32 s1, 0x3fee6f0e
	;; [unrolled: 1-line block ×10, first 2 shown]
	s_waitcnt vmcnt(0)
	v_and_b32_e32 v87, 0xff, v84
	s_delay_alu instid0(VALU_DEP_1) | instskip(NEXT) | instid1(VALU_DEP_1)
	v_mul_lo_u16 v83, 0xcd, v87
	v_lshrrev_b16 v88, 10, v83
	s_delay_alu instid0(VALU_DEP_1) | instskip(NEXT) | instid1(VALU_DEP_1)
	v_mul_lo_u16 v83, v88, 5
	v_sub_nc_u16 v83, v84, v83
	s_delay_alu instid0(VALU_DEP_1) | instskip(NEXT) | instid1(VALU_DEP_1)
	v_and_b32_e32 v89, 0xff, v83
	v_lshlrev_b32_e32 v85, 6, v89
	s_clause 0x3
	global_load_b128 v[172:175], v85, s[2:3]
	global_load_b128 v[148:151], v85, s[2:3] offset:16
	global_load_b128 v[136:139], v85, s[2:3] offset:32
	;; [unrolled: 1-line block ×3, first 2 shown]
	s_waitcnt vmcnt(3) lgkmcnt(8)
	v_mul_f64 v[83:84], v[78:79], v[174:175]
	s_delay_alu instid0(VALU_DEP_1) | instskip(SKIP_1) | instid1(VALU_DEP_1)
	v_fma_f64 v[83:84], v[76:77], v[172:173], -v[83:84]
	v_mul_f64 v[76:77], v[76:77], v[174:175]
	v_fma_f64 v[76:77], v[78:79], v[172:173], v[76:77]
	s_waitcnt vmcnt(2)
	v_mul_f64 v[78:79], v[54:55], v[150:151]
	s_delay_alu instid0(VALU_DEP_1) | instskip(SKIP_1) | instid1(VALU_DEP_1)
	v_fma_f64 v[78:79], v[52:53], v[148:149], -v[78:79]
	v_mul_f64 v[52:53], v[52:53], v[150:151]
	v_fma_f64 v[52:53], v[54:55], v[148:149], v[52:53]
	s_waitcnt vmcnt(1) lgkmcnt(4)
	v_mul_f64 v[54:55], v[58:59], v[138:139]
	s_delay_alu instid0(VALU_DEP_1) | instskip(SKIP_1) | instid1(VALU_DEP_2)
	v_fma_f64 v[54:55], v[56:57], v[136:137], -v[54:55]
	v_mul_f64 v[56:57], v[56:57], v[138:139]
	v_add_f64 v[110:111], v[78:79], -v[54:55]
	s_delay_alu instid0(VALU_DEP_2) | instskip(SKIP_2) | instid1(VALU_DEP_2)
	v_fma_f64 v[56:57], v[58:59], v[136:137], v[56:57]
	s_waitcnt vmcnt(0)
	v_mul_f64 v[58:59], v[48:49], v[134:135]
	v_add_f64 v[106:107], v[52:53], -v[56:57]
	s_delay_alu instid0(VALU_DEP_2) | instskip(SKIP_1) | instid1(VALU_DEP_2)
	v_fma_f64 v[58:59], v[50:51], v[132:133], v[58:59]
	v_mul_f64 v[50:51], v[50:51], v[134:135]
	v_add_f64 v[104:105], v[76:77], -v[58:59]
	s_delay_alu instid0(VALU_DEP_2) | instskip(SKIP_1) | instid1(VALU_DEP_1)
	v_fma_f64 v[50:51], v[48:49], v[132:133], -v[50:51]
	v_and_b32_e32 v48, 0xff, v152
	v_mul_lo_u16 v48, 0xcd, v48
	s_delay_alu instid0(VALU_DEP_1) | instskip(NEXT) | instid1(VALU_DEP_1)
	v_lshrrev_b16 v90, 10, v48
	v_mul_lo_u16 v48, v90, 5
	s_delay_alu instid0(VALU_DEP_1) | instskip(NEXT) | instid1(VALU_DEP_1)
	v_sub_nc_u16 v48, v152, v48
	v_and_b32_e32 v91, 0xff, v48
	s_delay_alu instid0(VALU_DEP_1)
	v_lshlrev_b32_e32 v85, 6, v91
	s_clause 0x3
	global_load_b128 v[140:143], v85, s[2:3]
	global_load_b128 v[168:171], v85, s[2:3] offset:16
	global_load_b128 v[164:167], v85, s[2:3] offset:32
	;; [unrolled: 1-line block ×3, first 2 shown]
	v_add_f64 v[108:109], v[83:84], -v[50:51]
	s_waitcnt vmcnt(3)
	v_mul_f64 v[48:49], v[46:47], v[142:143]
	s_delay_alu instid0(VALU_DEP_1) | instskip(SKIP_1) | instid1(VALU_DEP_1)
	v_fma_f64 v[48:49], v[44:45], v[140:141], -v[48:49]
	v_mul_f64 v[44:45], v[44:45], v[142:143]
	v_fma_f64 v[44:45], v[46:47], v[140:141], v[44:45]
	s_waitcnt vmcnt(2)
	v_mul_f64 v[46:47], v[38:39], v[170:171]
	s_delay_alu instid0(VALU_DEP_1) | instskip(SKIP_1) | instid1(VALU_DEP_1)
	v_fma_f64 v[46:47], v[36:37], v[168:169], -v[46:47]
	v_mul_f64 v[36:37], v[36:37], v[170:171]
	v_fma_f64 v[36:37], v[38:39], v[168:169], v[36:37]
	s_waitcnt vmcnt(1) lgkmcnt(2)
	v_mul_f64 v[38:39], v[42:43], v[166:167]
	s_delay_alu instid0(VALU_DEP_1) | instskip(SKIP_1) | instid1(VALU_DEP_2)
	v_fma_f64 v[38:39], v[40:41], v[164:165], -v[38:39]
	v_mul_f64 v[40:41], v[40:41], v[166:167]
	v_add_f64 v[114:115], v[46:47], -v[38:39]
	s_delay_alu instid0(VALU_DEP_2) | instskip(SKIP_2) | instid1(VALU_DEP_1)
	v_fma_f64 v[40:41], v[42:43], v[164:165], v[40:41]
	s_waitcnt vmcnt(0)
	v_mul_f64 v[42:43], v[34:35], v[162:163]
	v_fma_f64 v[42:43], v[32:33], v[160:161], -v[42:43]
	v_mul_f64 v[32:33], v[32:33], v[162:163]
	s_delay_alu instid0(VALU_DEP_2) | instskip(NEXT) | instid1(VALU_DEP_2)
	v_add_f64 v[112:113], v[48:49], -v[42:43]
	v_fma_f64 v[85:86], v[34:35], v[160:161], v[32:33]
	v_and_b32_e32 v32, 0xff, v208
	s_delay_alu instid0(VALU_DEP_1) | instskip(NEXT) | instid1(VALU_DEP_1)
	v_mul_lo_u16 v32, 0xcd, v32
	v_lshrrev_b16 v92, 10, v32
	s_delay_alu instid0(VALU_DEP_1) | instskip(NEXT) | instid1(VALU_DEP_1)
	v_mul_lo_u16 v32, v92, 5
	v_sub_nc_u16 v32, v208, v32
	s_delay_alu instid0(VALU_DEP_1) | instskip(NEXT) | instid1(VALU_DEP_1)
	v_and_b32_e32 v93, 0xff, v32
	v_lshlrev_b32_e32 v34, 6, v93
	s_clause 0x3
	global_load_b128 v[188:191], v34, s[2:3]
	global_load_b128 v[184:187], v34, s[2:3] offset:16
	global_load_b128 v[180:183], v34, s[2:3] offset:32
	global_load_b128 v[176:179], v34, s[2:3] offset:48
	s_waitcnt vmcnt(3)
	v_mul_f64 v[32:33], v[30:31], v[190:191]
	s_delay_alu instid0(VALU_DEP_1) | instskip(SKIP_1) | instid1(VALU_DEP_1)
	v_fma_f64 v[32:33], v[28:29], v[188:189], -v[32:33]
	v_mul_f64 v[28:29], v[28:29], v[190:191]
	v_fma_f64 v[28:29], v[30:31], v[188:189], v[28:29]
	s_waitcnt vmcnt(2)
	v_mul_f64 v[30:31], v[26:27], v[186:187]
	s_delay_alu instid0(VALU_DEP_1) | instskip(SKIP_1) | instid1(VALU_DEP_1)
	v_fma_f64 v[30:31], v[24:25], v[184:185], -v[30:31]
	v_mul_f64 v[24:25], v[24:25], v[186:187]
	v_fma_f64 v[24:25], v[26:27], v[184:185], v[24:25]
	s_waitcnt vmcnt(1) lgkmcnt(1)
	v_mul_f64 v[26:27], v[22:23], v[182:183]
	s_delay_alu instid0(VALU_DEP_1) | instskip(SKIP_1) | instid1(VALU_DEP_1)
	v_fma_f64 v[26:27], v[20:21], v[180:181], -v[26:27]
	v_mul_f64 v[20:21], v[20:21], v[182:183]
	v_fma_f64 v[20:21], v[22:23], v[180:181], v[20:21]
	s_waitcnt vmcnt(0) lgkmcnt(0)
	v_mul_f64 v[22:23], v[18:19], v[178:179]
	s_delay_alu instid0(VALU_DEP_1) | instskip(SKIP_1) | instid1(VALU_DEP_1)
	v_fma_f64 v[22:23], v[16:17], v[176:177], -v[22:23]
	v_mul_f64 v[16:17], v[16:17], v[178:179]
	v_fma_f64 v[34:35], v[18:19], v[176:177], v[16:17]
	v_and_b32_e32 v16, 0xffff, v216
	s_delay_alu instid0(VALU_DEP_1) | instskip(NEXT) | instid1(VALU_DEP_1)
	v_mul_u32_u24_e32 v16, 0xcccd, v16
	v_lshrrev_b32_e32 v94, 18, v16
	s_delay_alu instid0(VALU_DEP_1) | instskip(NEXT) | instid1(VALU_DEP_1)
	v_mul_lo_u16 v16, v94, 5
	v_sub_nc_u16 v95, v216, v16
	s_delay_alu instid0(VALU_DEP_1) | instskip(NEXT) | instid1(VALU_DEP_1)
	v_lshlrev_b16 v16, 2, v95
	v_and_b32_e32 v16, 0xffff, v16
	s_delay_alu instid0(VALU_DEP_1)
	v_lshlrev_b32_e32 v96, 4, v16
	s_clause 0x3
	global_load_b128 v[204:207], v96, s[2:3]
	global_load_b128 v[200:203], v96, s[2:3] offset:16
	global_load_b128 v[196:199], v96, s[2:3] offset:32
	global_load_b128 v[192:195], v96, s[2:3] offset:48
	v_add_f64 v[96:97], v[58:59], -v[56:57]
	s_waitcnt vmcnt(0)
	s_barrier
	buffer_gl0_inv
	v_mul_f64 v[16:17], v[2:3], v[206:207]
	s_delay_alu instid0(VALU_DEP_1) | instskip(SKIP_1) | instid1(VALU_DEP_1)
	v_fma_f64 v[16:17], v[0:1], v[204:205], -v[16:17]
	v_mul_f64 v[0:1], v[0:1], v[206:207]
	v_fma_f64 v[18:19], v[2:3], v[204:205], v[0:1]
	v_mul_f64 v[0:1], v[10:11], v[202:203]
	v_mul_f64 v[2:3], v[8:9], v[202:203]
	s_delay_alu instid0(VALU_DEP_2) | instskip(SKIP_1) | instid1(VALU_DEP_3)
	v_fma_f64 v[0:1], v[8:9], v[200:201], -v[0:1]
	v_mul_f64 v[8:9], v[14:15], v[198:199]
	v_fma_f64 v[2:3], v[10:11], v[200:201], v[2:3]
	v_mul_f64 v[10:11], v[12:13], v[198:199]
	s_delay_alu instid0(VALU_DEP_3) | instskip(SKIP_1) | instid1(VALU_DEP_3)
	v_fma_f64 v[8:9], v[12:13], v[196:197], -v[8:9]
	v_mul_f64 v[12:13], v[6:7], v[194:195]
	v_fma_f64 v[10:11], v[14:15], v[196:197], v[10:11]
	v_add_f64 v[14:15], v[50:51], -v[54:55]
	s_delay_alu instid0(VALU_DEP_3) | instskip(SKIP_1) | instid1(VALU_DEP_1)
	v_fma_f64 v[12:13], v[4:5], v[192:193], -v[12:13]
	v_mul_f64 v[4:5], v[4:5], v[194:195]
	v_fma_f64 v[4:5], v[6:7], v[192:193], v[4:5]
	v_add_f64 v[6:7], v[83:84], -v[78:79]
	s_delay_alu instid0(VALU_DEP_1) | instskip(SKIP_1) | instid1(VALU_DEP_1)
	v_add_f64 v[6:7], v[6:7], v[14:15]
	v_add_f64 v[14:15], v[76:77], -v[52:53]
	v_add_f64 v[14:15], v[14:15], v[96:97]
	v_add_f64 v[96:97], v[78:79], v[54:55]
	s_delay_alu instid0(VALU_DEP_1) | instskip(SKIP_1) | instid1(VALU_DEP_1)
	v_fma_f64 v[100:101], v[96:97], -0.5, v[72:73]
	v_add_f64 v[96:97], v[52:53], v[56:57]
	v_fma_f64 v[102:103], v[96:97], -0.5, v[74:75]
	s_delay_alu instid0(VALU_DEP_3) | instskip(SKIP_1) | instid1(VALU_DEP_3)
	v_fma_f64 v[96:97], v[104:105], s[0:1], v[100:101]
	v_fma_f64 v[100:101], v[104:105], s[10:11], v[100:101]
	;; [unrolled: 1-line block ×4, first 2 shown]
	s_delay_alu instid0(VALU_DEP_4) | instskip(NEXT) | instid1(VALU_DEP_4)
	v_fma_f64 v[96:97], v[106:107], s[12:13], v[96:97]
	v_fma_f64 v[100:101], v[106:107], s[14:15], v[100:101]
	s_delay_alu instid0(VALU_DEP_4) | instskip(NEXT) | instid1(VALU_DEP_4)
	v_fma_f64 v[98:99], v[110:111], s[14:15], v[98:99]
	v_fma_f64 v[102:103], v[110:111], s[12:13], v[102:103]
	;; [unrolled: 3-line block ×3, first 2 shown]
	v_add_f64 v[6:7], v[83:84], v[50:51]
	v_fma_f64 v[98:99], v[14:15], s[16:17], v[98:99]
	v_fma_f64 v[102:103], v[14:15], s[16:17], v[102:103]
	v_add_f64 v[14:15], v[76:77], v[58:59]
	s_delay_alu instid0(VALU_DEP_4) | instskip(SKIP_2) | instid1(VALU_DEP_4)
	v_fma_f64 v[6:7], v[6:7], -0.5, v[72:73]
	v_add_f64 v[72:73], v[72:73], v[83:84]
	v_add_f64 v[83:84], v[78:79], -v[83:84]
	v_fma_f64 v[14:15], v[14:15], -0.5, v[74:75]
	v_add_f64 v[74:75], v[74:75], v[76:77]
	v_add_f64 v[76:77], v[52:53], -v[76:77]
	v_add_f64 v[72:73], v[72:73], v[78:79]
	s_delay_alu instid0(VALU_DEP_3) | instskip(NEXT) | instid1(VALU_DEP_2)
	v_add_f64 v[74:75], v[74:75], v[52:53]
	v_add_f64 v[52:53], v[72:73], v[54:55]
	v_add_f64 v[54:55], v[54:55], -v[50:51]
	s_delay_alu instid0(VALU_DEP_3) | instskip(SKIP_1) | instid1(VALU_DEP_4)
	v_add_f64 v[72:73], v[74:75], v[56:57]
	v_add_f64 v[56:57], v[56:57], -v[58:59]
	v_add_f64 v[50:51], v[52:53], v[50:51]
	s_delay_alu instid0(VALU_DEP_4) | instskip(NEXT) | instid1(VALU_DEP_4)
	v_add_f64 v[74:75], v[83:84], v[54:55]
	v_add_f64 v[52:53], v[72:73], v[58:59]
	v_fma_f64 v[58:59], v[106:107], s[10:11], v[6:7]
	v_fma_f64 v[6:7], v[106:107], s[0:1], v[6:7]
	;; [unrolled: 1-line block ×4, first 2 shown]
	v_add_f64 v[76:77], v[76:77], v[56:57]
	v_add_f64 v[110:111], v[36:37], -v[40:41]
	v_fma_f64 v[54:55], v[104:105], s[12:13], v[58:59]
	v_fma_f64 v[6:7], v[104:105], s[14:15], v[6:7]
	;; [unrolled: 1-line block ×4, first 2 shown]
	v_add_f64 v[58:59], v[85:86], -v[40:41]
	v_add_f64 v[108:109], v[44:45], -v[85:86]
	v_fma_f64 v[54:55], v[74:75], s[16:17], v[54:55]
	v_fma_f64 v[72:73], v[74:75], s[16:17], v[6:7]
	v_add_f64 v[6:7], v[48:49], -v[46:47]
	v_fma_f64 v[74:75], v[76:77], s[16:17], v[14:15]
	v_add_f64 v[14:15], v[42:43], -v[38:39]
	v_fma_f64 v[56:57], v[76:77], s[16:17], v[56:57]
	v_add_f64 v[76:77], v[36:37], v[40:41]
	s_delay_alu instid0(VALU_DEP_3) | instskip(SKIP_1) | instid1(VALU_DEP_3)
	v_add_f64 v[6:7], v[6:7], v[14:15]
	v_add_f64 v[14:15], v[44:45], -v[36:37]
	v_fma_f64 v[83:84], v[76:77], -0.5, v[70:71]
	s_delay_alu instid0(VALU_DEP_2) | instskip(SKIP_1) | instid1(VALU_DEP_3)
	v_add_f64 v[14:15], v[14:15], v[58:59]
	v_add_f64 v[58:59], v[46:47], v[38:39]
	v_fma_f64 v[78:79], v[112:113], s[10:11], v[83:84]
	v_fma_f64 v[83:84], v[112:113], s[0:1], v[83:84]
	s_delay_alu instid0(VALU_DEP_3) | instskip(NEXT) | instid1(VALU_DEP_3)
	v_fma_f64 v[58:59], v[58:59], -0.5, v[68:69]
	v_fma_f64 v[78:79], v[114:115], s[14:15], v[78:79]
	s_delay_alu instid0(VALU_DEP_3) | instskip(NEXT) | instid1(VALU_DEP_3)
	v_fma_f64 v[83:84], v[114:115], s[12:13], v[83:84]
	v_fma_f64 v[76:77], v[108:109], s[0:1], v[58:59]
	;; [unrolled: 1-line block ×3, first 2 shown]
	s_delay_alu instid0(VALU_DEP_4) | instskip(NEXT) | instid1(VALU_DEP_4)
	v_fma_f64 v[78:79], v[14:15], s[16:17], v[78:79]
	v_fma_f64 v[106:107], v[14:15], s[16:17], v[83:84]
	v_add_f64 v[14:15], v[44:45], v[85:86]
	v_fma_f64 v[76:77], v[110:111], s[12:13], v[76:77]
	v_fma_f64 v[58:59], v[110:111], s[14:15], v[58:59]
	s_delay_alu instid0(VALU_DEP_3) | instskip(NEXT) | instid1(VALU_DEP_3)
	v_fma_f64 v[14:15], v[14:15], -0.5, v[70:71]
	v_fma_f64 v[76:77], v[6:7], s[16:17], v[76:77]
	s_delay_alu instid0(VALU_DEP_3) | instskip(SKIP_3) | instid1(VALU_DEP_3)
	v_fma_f64 v[104:105], v[6:7], s[16:17], v[58:59]
	v_add_f64 v[6:7], v[48:49], v[42:43]
	v_add_f64 v[58:59], v[68:69], v[48:49]
	v_add_f64 v[48:49], v[46:47], -v[48:49]
	v_fma_f64 v[6:7], v[6:7], -0.5, v[68:69]
	v_add_f64 v[68:69], v[70:71], v[44:45]
	s_delay_alu instid0(VALU_DEP_4) | instskip(SKIP_2) | instid1(VALU_DEP_4)
	v_add_f64 v[46:47], v[58:59], v[46:47]
	v_add_f64 v[44:45], v[36:37], -v[44:45]
	v_add_f64 v[70:71], v[24:25], -v[20:21]
	v_add_f64 v[58:59], v[68:69], v[36:37]
	s_delay_alu instid0(VALU_DEP_4) | instskip(SKIP_1) | instid1(VALU_DEP_3)
	v_add_f64 v[36:37], v[46:47], v[38:39]
	v_add_f64 v[68:69], v[28:29], -v[34:35]
	v_add_f64 v[46:47], v[58:59], v[40:41]
	v_add_f64 v[58:59], v[38:39], -v[42:43]
	s_delay_alu instid0(VALU_DEP_4)
	v_add_f64 v[36:37], v[36:37], v[42:43]
	v_add_f64 v[40:41], v[40:41], -v[85:86]
	v_fma_f64 v[42:43], v[110:111], s[10:11], v[6:7]
	v_fma_f64 v[6:7], v[110:111], s[0:1], v[6:7]
	v_add_f64 v[38:39], v[46:47], v[85:86]
	v_fma_f64 v[46:47], v[114:115], s[0:1], v[14:15]
	v_fma_f64 v[14:15], v[114:115], s[10:11], v[14:15]
	v_add_f64 v[48:49], v[48:49], v[58:59]
	v_add_f64 v[58:59], v[44:45], v[40:41]
	v_fma_f64 v[6:7], v[108:109], s[14:15], v[6:7]
	v_fma_f64 v[40:41], v[108:109], s[12:13], v[42:43]
	v_add_f64 v[114:115], v[30:31], -v[26:27]
	v_fma_f64 v[42:43], v[112:113], s[14:15], v[46:47]
	v_fma_f64 v[14:15], v[112:113], s[12:13], v[14:15]
	v_add_f64 v[112:113], v[32:33], -v[22:23]
	v_fma_f64 v[44:45], v[48:49], s[16:17], v[6:7]
	v_add_f64 v[6:7], v[32:33], -v[30:31]
	;; [unrolled: 2-line block ×3, first 2 shown]
	v_fma_f64 v[42:43], v[58:59], s[16:17], v[42:43]
	v_fma_f64 v[46:47], v[58:59], s[16:17], v[14:15]
	v_add_f64 v[14:15], v[22:23], -v[26:27]
	v_add_f64 v[58:59], v[24:25], v[20:21]
	s_delay_alu instid0(VALU_DEP_2) | instskip(SKIP_1) | instid1(VALU_DEP_3)
	v_add_f64 v[6:7], v[6:7], v[14:15]
	v_add_f64 v[14:15], v[28:29], -v[24:25]
	v_fma_f64 v[58:59], v[58:59], -0.5, v[66:67]
	s_delay_alu instid0(VALU_DEP_2) | instskip(SKIP_1) | instid1(VALU_DEP_3)
	v_add_f64 v[14:15], v[14:15], v[48:49]
	v_add_f64 v[48:49], v[30:31], v[26:27]
	v_fma_f64 v[85:86], v[112:113], s[10:11], v[58:59]
	v_fma_f64 v[58:59], v[112:113], s[0:1], v[58:59]
	s_delay_alu instid0(VALU_DEP_3) | instskip(NEXT) | instid1(VALU_DEP_3)
	v_fma_f64 v[48:49], v[48:49], -0.5, v[64:65]
	v_fma_f64 v[85:86], v[114:115], s[14:15], v[85:86]
	s_delay_alu instid0(VALU_DEP_3) | instskip(NEXT) | instid1(VALU_DEP_3)
	v_fma_f64 v[58:59], v[114:115], s[12:13], v[58:59]
	v_fma_f64 v[83:84], v[68:69], s[0:1], v[48:49]
	;; [unrolled: 1-line block ×3, first 2 shown]
	s_delay_alu instid0(VALU_DEP_3)
	v_fma_f64 v[110:111], v[14:15], s[16:17], v[58:59]
	v_add_f64 v[58:59], v[66:67], v[28:29]
	v_fma_f64 v[85:86], v[14:15], s[16:17], v[85:86]
	v_add_f64 v[14:15], v[28:29], v[34:35]
	v_add_f64 v[28:29], v[24:25], -v[28:29]
	v_fma_f64 v[83:84], v[70:71], s[12:13], v[83:84]
	v_fma_f64 v[48:49], v[70:71], s[14:15], v[48:49]
	s_delay_alu instid0(VALU_DEP_4) | instskip(NEXT) | instid1(VALU_DEP_3)
	v_fma_f64 v[14:15], v[14:15], -0.5, v[66:67]
	v_fma_f64 v[83:84], v[6:7], s[16:17], v[83:84]
	s_delay_alu instid0(VALU_DEP_3) | instskip(SKIP_3) | instid1(VALU_DEP_3)
	v_fma_f64 v[108:109], v[6:7], s[16:17], v[48:49]
	v_add_f64 v[48:49], v[64:65], v[32:33]
	v_add_f64 v[6:7], v[32:33], v[22:23]
	v_add_f64 v[32:33], v[30:31], -v[32:33]
	v_add_f64 v[30:31], v[48:49], v[30:31]
	v_add_f64 v[48:49], v[58:59], v[24:25]
	s_delay_alu instid0(VALU_DEP_4)
	v_fma_f64 v[6:7], v[6:7], -0.5, v[64:65]
	v_add_f64 v[58:59], v[16:17], -v[12:13]
	v_add_f64 v[64:65], v[0:1], -v[8:9]
	v_add_f64 v[24:25], v[30:31], v[26:27]
	v_add_f64 v[30:31], v[48:49], v[20:21]
	v_add_f64 v[26:27], v[26:27], -v[22:23]
	v_add_f64 v[20:21], v[20:21], -v[34:35]
	;; [unrolled: 1-line block ×3, first 2 shown]
	v_add_f64 v[22:23], v[24:25], v[22:23]
	v_add_f64 v[24:25], v[30:31], v[34:35]
	v_fma_f64 v[30:31], v[70:71], s[10:11], v[6:7]
	v_fma_f64 v[6:7], v[70:71], s[0:1], v[6:7]
	;; [unrolled: 1-line block ×4, first 2 shown]
	v_add_f64 v[32:33], v[32:33], v[26:27]
	v_add_f64 v[20:21], v[28:29], v[20:21]
	v_fma_f64 v[26:27], v[68:69], s[12:13], v[30:31]
	v_fma_f64 v[6:7], v[68:69], s[14:15], v[6:7]
	;; [unrolled: 1-line block ×4, first 2 shown]
	v_add_f64 v[34:35], v[2:3], v[10:11]
	v_fma_f64 v[26:27], v[32:33], s[16:17], v[26:27]
	v_fma_f64 v[30:31], v[32:33], s[16:17], v[6:7]
	v_and_b32_e32 v6, 0xffff, v88
	v_fma_f64 v[32:33], v[20:21], s[16:17], v[14:15]
	v_add_f64 v[14:15], v[12:13], -v[8:9]
	v_fma_f64 v[28:29], v[20:21], s[16:17], v[28:29]
	v_add_f64 v[20:21], v[4:5], -v[10:11]
	v_mul_u32_u24_e32 v6, 25, v6
	v_fma_f64 v[34:35], v[34:35], -0.5, v[62:63]
	s_delay_alu instid0(VALU_DEP_2) | instskip(NEXT) | instid1(VALU_DEP_1)
	v_add_nc_u32_e32 v6, v6, v89
	v_lshl_add_u32 v71, v6, 4, v215
	v_add_f64 v[6:7], v[16:17], -v[0:1]
	ds_store_b128 v71, v[50:53]
	v_add_f64 v[50:51], v[2:3], -v[10:11]
	ds_store_b128 v71, v[96:99] offset:80
	ds_store_b128 v71, v[54:57] offset:160
	;; [unrolled: 1-line block ×4, first 2 shown]
	v_fma_f64 v[66:67], v[58:59], s[10:11], v[34:35]
	v_fma_f64 v[34:35], v[58:59], s[0:1], v[34:35]
	v_add_f64 v[6:7], v[6:7], v[14:15]
	v_add_f64 v[14:15], v[18:19], -v[2:3]
	s_delay_alu instid0(VALU_DEP_4) | instskip(NEXT) | instid1(VALU_DEP_4)
	v_fma_f64 v[66:67], v[64:65], s[14:15], v[66:67]
	v_fma_f64 v[34:35], v[64:65], s[12:13], v[34:35]
	s_delay_alu instid0(VALU_DEP_3) | instskip(SKIP_1) | instid1(VALU_DEP_2)
	v_add_f64 v[14:15], v[14:15], v[20:21]
	v_add_f64 v[20:21], v[0:1], v[8:9]
	v_fma_f64 v[146:147], v[14:15], s[16:17], v[66:67]
	s_delay_alu instid0(VALU_DEP_2) | instskip(SKIP_3) | instid1(VALU_DEP_4)
	v_fma_f64 v[20:21], v[20:21], -0.5, v[60:61]
	v_fma_f64 v[234:235], v[14:15], s[16:17], v[34:35]
	v_add_f64 v[14:15], v[8:9], -v[12:13]
	v_add_f64 v[34:35], v[18:19], v[4:5]
	v_fma_f64 v[52:53], v[48:49], s[0:1], v[20:21]
	v_fma_f64 v[20:21], v[48:49], s[10:11], v[20:21]
	s_delay_alu instid0(VALU_DEP_3) | instskip(NEXT) | instid1(VALU_DEP_3)
	v_fma_f64 v[34:35], v[34:35], -0.5, v[62:63]
	v_fma_f64 v[52:53], v[50:51], s[12:13], v[52:53]
	s_delay_alu instid0(VALU_DEP_3) | instskip(NEXT) | instid1(VALU_DEP_2)
	v_fma_f64 v[20:21], v[50:51], s[14:15], v[20:21]
	v_fma_f64 v[144:145], v[6:7], s[16:17], v[52:53]
	s_delay_alu instid0(VALU_DEP_2) | instskip(SKIP_2) | instid1(VALU_DEP_2)
	v_fma_f64 v[232:233], v[6:7], s[16:17], v[20:21]
	v_add_f64 v[6:7], v[0:1], -v[16:17]
	v_add_f64 v[52:53], v[2:3], -v[18:19]
	v_add_f64 v[6:7], v[6:7], v[14:15]
	v_add_f64 v[14:15], v[16:17], v[12:13]
	s_delay_alu instid0(VALU_DEP_1) | instskip(NEXT) | instid1(VALU_DEP_1)
	v_fma_f64 v[14:15], v[14:15], -0.5, v[60:61]
	v_fma_f64 v[20:21], v[50:51], s[10:11], v[14:15]
	v_fma_f64 v[14:15], v[50:51], s[0:1], v[14:15]
	;; [unrolled: 1-line block ×4, first 2 shown]
	v_add_f64 v[64:65], v[10:11], -v[4:5]
	v_fma_f64 v[20:21], v[48:49], s[12:13], v[20:21]
	v_fma_f64 v[14:15], v[48:49], s[14:15], v[14:15]
	;; [unrolled: 1-line block ×4, first 2 shown]
	v_add_f64 v[52:53], v[52:53], v[64:65]
	v_fma_f64 v[240:241], v[6:7], s[16:17], v[20:21]
	v_fma_f64 v[236:237], v[6:7], s[16:17], v[14:15]
	v_and_b32_e32 v6, 0xffff, v90
	s_delay_alu instid0(VALU_DEP_4) | instskip(SKIP_1) | instid1(VALU_DEP_3)
	v_fma_f64 v[242:243], v[52:53], s[16:17], v[48:49]
	v_fma_f64 v[238:239], v[52:53], s[16:17], v[34:35]
	v_mul_u32_u24_e32 v6, 25, v6
	s_delay_alu instid0(VALU_DEP_1) | instskip(NEXT) | instid1(VALU_DEP_1)
	v_add_nc_u32_e32 v6, v6, v91
	v_lshl_add_u32 v70, v6, 4, v215
	v_and_b32_e32 v6, 0xffff, v92
	ds_store_b128 v70, v[36:39]
	ds_store_b128 v70, v[76:79] offset:80
	ds_store_b128 v70, v[40:43] offset:160
	;; [unrolled: 1-line block ×4, first 2 shown]
	v_mul_u32_u24_e32 v6, 25, v6
	s_delay_alu instid0(VALU_DEP_1) | instskip(NEXT) | instid1(VALU_DEP_1)
	v_add_nc_u32_e32 v6, v6, v93
	v_lshl_add_u32 v69, v6, 4, v215
	v_mad_u16 v6, v94, 25, v95
	ds_store_b128 v69, v[22:25]
	ds_store_b128 v69, v[83:86] offset:80
	ds_store_b128 v69, v[26:29] offset:160
	ds_store_b128 v69, v[30:33] offset:240
	ds_store_b128 v69, v[108:111] offset:320
	scratch_store_b32 off, v6, off offset:348 ; 4-byte Folded Spill
	s_and_saveexec_b32 s0, vcc_lo
	s_cbranch_execz .LBB0_11
; %bb.10:
	v_add_f64 v[6:7], v[62:63], v[18:19]
	v_add_f64 v[14:15], v[60:61], v[16:17]
	s_delay_alu instid0(VALU_DEP_2) | instskip(NEXT) | instid1(VALU_DEP_2)
	v_add_f64 v[2:3], v[6:7], v[2:3]
	v_add_f64 v[0:1], v[14:15], v[0:1]
	s_delay_alu instid0(VALU_DEP_2) | instskip(NEXT) | instid1(VALU_DEP_2)
	v_add_f64 v[2:3], v[2:3], v[10:11]
	v_add_f64 v[0:1], v[0:1], v[8:9]
	s_delay_alu instid0(VALU_DEP_2) | instskip(SKIP_4) | instid1(VALU_DEP_1)
	v_add_f64 v[2:3], v[2:3], v[4:5]
	scratch_load_b32 v4, off, off offset:348 ; 4-byte Folded Reload
	v_add_f64 v[0:1], v[0:1], v[12:13]
	s_waitcnt vmcnt(0)
	v_and_b32_e32 v4, 0xffff, v4
	v_lshl_add_u32 v4, v4, 4, v215
	ds_store_b128 v4, v[240:243] offset:160
	ds_store_b128 v4, v[236:239] offset:240
	ds_store_b128 v4, v[0:3]
	ds_store_b128 v4, v[144:147] offset:80
	ds_store_b128 v4, v[232:235] offset:320
.LBB0_11:
	s_or_b32 exec_lo, exec_lo, s0
	scratch_load_b32 v83, off, off          ; 4-byte Folded Reload
	v_mul_lo_u16 v0, v87, 41
	s_waitcnt vmcnt(0) lgkmcnt(0)
	s_waitcnt_vscnt null, 0x0
	s_barrier
	buffer_gl0_inv
	s_mov_b32 s0, 0x667f3bcd
	v_lshrrev_b16 v4, 10, v0
	s_mov_b32 s1, 0xbfe6a09e
	s_mov_b32 s11, 0x3fe6a09e
	;; [unrolled: 1-line block ×4, first 2 shown]
	v_mul_lo_u16 v0, v4, 25
	v_and_b32_e32 v4, 0xffff, v4
	s_mov_b32 s13, 0xbfed906b
	s_mov_b32 s19, 0x3fed906b
	;; [unrolled: 1-line block ×4, first 2 shown]
	v_mul_u32_u24_e32 v4, 0x190, v4
	s_mov_b32 s15, 0xbfd87de2
	s_mov_b32 s17, 0x3fd87de2
	;; [unrolled: 1-line block ×3, first 2 shown]
	v_sub_nc_u16 v0, v83, v0
	s_delay_alu instid0(VALU_DEP_1) | instskip(NEXT) | instid1(VALU_DEP_1)
	v_and_b32_e32 v5, 0xff, v0
	v_mad_u64_u32 v[10:11], null, 0xf0, v5, s[2:3]
	v_add_nc_u32_e32 v4, v4, v5
	s_clause 0x4
	global_load_b128 v[30:33], v[10:11], off offset:320
	global_load_b128 v[26:29], v[10:11], off offset:336
	;; [unrolled: 1-line block ×5, first 2 shown]
	ds_load_b128 v[0:3], v82 offset:1200
	ds_load_b128 v[6:9], v82 offset:2400
	s_clause 0x9
	global_load_b128 v[92:95], v[10:11], off offset:400
	global_load_b128 v[96:99], v[10:11], off offset:416
	;; [unrolled: 1-line block ×10, first 2 shown]
	v_lshl_add_u32 v68, v4, 4, v215
	scratch_store_b32 off, v215, off offset:12 ; 4-byte Folded Spill
	s_waitcnt vmcnt(14) lgkmcnt(1)
	v_mul_f64 v[12:13], v[2:3], v[32:33]
	v_mul_f64 v[14:15], v[0:1], v[32:33]
	s_waitcnt vmcnt(13) lgkmcnt(0)
	v_mul_f64 v[16:17], v[8:9], v[28:29]
	v_mul_f64 v[18:19], v[6:7], v[28:29]
	s_waitcnt vmcnt(12)
	s_clause 0x2
	scratch_store_b128 off, v[22:25], off offset:292
	scratch_store_b128 off, v[30:33], off offset:324
	;; [unrolled: 1-line block ×3, first 2 shown]
	v_fma_f64 v[12:13], v[0:1], v[30:31], -v[12:13]
	v_fma_f64 v[14:15], v[2:3], v[30:31], v[14:15]
	ds_load_b128 v[0:3], v82 offset:3600
	v_fma_f64 v[16:17], v[6:7], v[26:27], -v[16:17]
	v_fma_f64 v[18:19], v[8:9], v[26:27], v[18:19]
	s_waitcnt lgkmcnt(0)
	v_mul_f64 v[20:21], v[2:3], v[24:25]
	v_mul_f64 v[6:7], v[0:1], v[24:25]
	s_delay_alu instid0(VALU_DEP_2) | instskip(NEXT) | instid1(VALU_DEP_2)
	v_fma_f64 v[20:21], v[0:1], v[22:23], -v[20:21]
	v_fma_f64 v[22:23], v[2:3], v[22:23], v[6:7]
	ds_load_b128 v[0:3], v82 offset:4800
	s_waitcnt vmcnt(11) lgkmcnt(0)
	v_mul_f64 v[6:7], v[2:3], v[86:87]
	s_delay_alu instid0(VALU_DEP_1) | instskip(SKIP_1) | instid1(VALU_DEP_1)
	v_fma_f64 v[24:25], v[0:1], v[84:85], -v[6:7]
	v_mul_f64 v[0:1], v[0:1], v[86:87]
	v_fma_f64 v[26:27], v[2:3], v[84:85], v[0:1]
	ds_load_b128 v[0:3], v82 offset:6000
	s_waitcnt vmcnt(10) lgkmcnt(0)
	v_mul_f64 v[6:7], v[2:3], v[90:91]
	s_delay_alu instid0(VALU_DEP_1) | instskip(SKIP_1) | instid1(VALU_DEP_1)
	v_fma_f64 v[28:29], v[0:1], v[88:89], -v[6:7]
	v_mul_f64 v[0:1], v[0:1], v[90:91]
	v_fma_f64 v[30:31], v[2:3], v[88:89], v[0:1]
	ds_load_b128 v[0:3], v82 offset:7200
	s_waitcnt vmcnt(9) lgkmcnt(0)
	v_mul_f64 v[6:7], v[2:3], v[94:95]
	s_delay_alu instid0(VALU_DEP_1) | instskip(SKIP_1) | instid1(VALU_DEP_1)
	v_fma_f64 v[32:33], v[0:1], v[92:93], -v[6:7]
	v_mul_f64 v[0:1], v[0:1], v[94:95]
	v_fma_f64 v[34:35], v[2:3], v[92:93], v[0:1]
	ds_load_b128 v[0:3], v82 offset:8400
	s_waitcnt vmcnt(8) lgkmcnt(0)
	v_mul_f64 v[6:7], v[2:3], v[98:99]
	s_delay_alu instid0(VALU_DEP_1) | instskip(SKIP_1) | instid1(VALU_DEP_1)
	v_fma_f64 v[36:37], v[0:1], v[96:97], -v[6:7]
	v_mul_f64 v[0:1], v[0:1], v[98:99]
	v_fma_f64 v[38:39], v[2:3], v[96:97], v[0:1]
	ds_load_b128 v[0:3], v82 offset:9600
	s_waitcnt vmcnt(7) lgkmcnt(0)
	v_mul_f64 v[6:7], v[2:3], v[102:103]
	s_delay_alu instid0(VALU_DEP_1) | instskip(SKIP_1) | instid1(VALU_DEP_1)
	v_fma_f64 v[40:41], v[0:1], v[100:101], -v[6:7]
	v_mul_f64 v[0:1], v[0:1], v[102:103]
	v_fma_f64 v[42:43], v[2:3], v[100:101], v[0:1]
	ds_load_b128 v[0:3], v82 offset:14400
	s_waitcnt vmcnt(5) lgkmcnt(0)
	v_mul_f64 v[6:7], v[2:3], v[106:107]
	s_delay_alu instid0(VALU_DEP_1) | instskip(SKIP_1) | instid1(VALU_DEP_2)
	v_fma_f64 v[44:45], v[0:1], v[104:105], -v[6:7]
	v_mul_f64 v[0:1], v[0:1], v[106:107]
	v_add_f64 v[44:45], v[24:25], -v[44:45]
	s_delay_alu instid0(VALU_DEP_2) | instskip(SKIP_4) | instid1(VALU_DEP_2)
	v_fma_f64 v[46:47], v[2:3], v[104:105], v[0:1]
	ds_load_b128 v[0:3], v82 offset:12000
	s_waitcnt vmcnt(3) lgkmcnt(0)
	v_mul_f64 v[6:7], v[2:3], v[110:111]
	v_add_f64 v[46:47], v[26:27], -v[46:47]
	v_fma_f64 v[48:49], v[0:1], v[108:109], -v[6:7]
	v_mul_f64 v[0:1], v[0:1], v[110:111]
	s_delay_alu instid0(VALU_DEP_2) | instskip(NEXT) | instid1(VALU_DEP_2)
	v_add_f64 v[48:49], v[16:17], -v[48:49]
	v_fma_f64 v[50:51], v[2:3], v[108:109], v[0:1]
	ds_load_b128 v[0:3], v82 offset:16800
	s_waitcnt vmcnt(1) lgkmcnt(0)
	v_mul_f64 v[6:7], v[2:3], v[114:115]
	v_add_f64 v[50:51], v[18:19], -v[50:51]
	s_delay_alu instid0(VALU_DEP_2) | instskip(SKIP_1) | instid1(VALU_DEP_2)
	v_fma_f64 v[52:53], v[0:1], v[112:113], -v[6:7]
	v_mul_f64 v[0:1], v[0:1], v[114:115]
	v_add_f64 v[52:53], v[32:33], -v[52:53]
	s_delay_alu instid0(VALU_DEP_2) | instskip(SKIP_4) | instid1(VALU_DEP_2)
	v_fma_f64 v[54:55], v[2:3], v[112:113], v[0:1]
	ds_load_b128 v[0:3], v82 offset:10800
	s_waitcnt lgkmcnt(0)
	v_mul_f64 v[6:7], v[2:3], v[118:119]
	v_add_f64 v[54:55], v[34:35], -v[54:55]
	v_fma_f64 v[56:57], v[0:1], v[116:117], -v[6:7]
	v_mul_f64 v[0:1], v[0:1], v[118:119]
	s_delay_alu instid0(VALU_DEP_2) | instskip(NEXT) | instid1(VALU_DEP_2)
	v_add_f64 v[56:57], v[12:13], -v[56:57]
	v_fma_f64 v[58:59], v[2:3], v[116:117], v[0:1]
	ds_load_b128 v[0:3], v82 offset:15600
	s_waitcnt lgkmcnt(0)
	v_mul_f64 v[6:7], v[2:3], v[122:123]
	v_add_f64 v[58:59], v[14:15], -v[58:59]
	s_delay_alu instid0(VALU_DEP_2) | instskip(SKIP_1) | instid1(VALU_DEP_2)
	v_fma_f64 v[60:61], v[0:1], v[120:121], -v[6:7]
	v_mul_f64 v[0:1], v[0:1], v[122:123]
	v_add_f64 v[60:61], v[28:29], -v[60:61]
	s_delay_alu instid0(VALU_DEP_2) | instskip(SKIP_4) | instid1(VALU_DEP_2)
	v_fma_f64 v[62:63], v[2:3], v[120:121], v[0:1]
	ds_load_b128 v[0:3], v82 offset:13200
	s_waitcnt lgkmcnt(0)
	v_mul_f64 v[6:7], v[2:3], v[126:127]
	v_add_f64 v[62:63], v[30:31], -v[62:63]
	v_fma_f64 v[64:65], v[0:1], v[124:125], -v[6:7]
	v_mul_f64 v[0:1], v[0:1], v[126:127]
	s_delay_alu instid0(VALU_DEP_2) | instskip(NEXT) | instid1(VALU_DEP_2)
	v_add_f64 v[64:65], v[20:21], -v[64:65]
	v_fma_f64 v[66:67], v[2:3], v[124:125], v[0:1]
	ds_load_b128 v[0:3], v82 offset:18000
	s_waitcnt vmcnt(0) lgkmcnt(0)
	v_mul_f64 v[6:7], v[0:1], v[130:131]
	v_add_f64 v[66:67], v[22:23], -v[66:67]
	s_delay_alu instid0(VALU_DEP_2)
	v_fma_f64 v[10:11], v[2:3], v[128:129], v[6:7]
	v_mul_f64 v[2:3], v[2:3], v[130:131]
	ds_load_b128 v[6:9], v82
	s_waitcnt lgkmcnt(0)
	s_waitcnt_vscnt null, 0x0
	s_barrier
	buffer_gl0_inv
	v_fma_f64 v[22:23], v[22:23], 2.0, -v[66:67]
	v_add_f64 v[74:75], v[38:39], -v[10:11]
	v_fma_f64 v[72:73], v[0:1], v[128:129], -v[2:3]
	v_add_f64 v[0:1], v[6:7], -v[40:41]
	v_add_f64 v[2:3], v[8:9], -v[42:43]
	v_fma_f64 v[10:11], v[32:33], 2.0, -v[52:53]
	v_fma_f64 v[32:33], v[12:13], 2.0, -v[56:57]
	;; [unrolled: 1-line block ×4, first 2 shown]
	v_add_f64 v[52:53], v[50:51], v[52:53]
	v_add_f64 v[60:61], v[58:59], v[60:61]
	v_add_f64 v[72:73], v[36:37], -v[72:73]
	v_fma_f64 v[40:41], v[6:7], 2.0, -v[0:1]
	v_fma_f64 v[42:43], v[8:9], 2.0, -v[2:3]
	;; [unrolled: 1-line block ×10, first 2 shown]
	v_add_f64 v[78:79], v[32:33], -v[12:13]
	v_add_f64 v[46:47], v[0:1], -v[46:47]
	v_add_f64 v[54:55], v[48:49], -v[54:55]
	v_add_f64 v[44:45], v[2:3], v[44:45]
	v_add_f64 v[62:63], v[56:57], -v[62:63]
	v_add_f64 v[74:75], v[64:65], -v[74:75]
	v_fma_f64 v[20:21], v[36:37], 2.0, -v[72:73]
	v_add_f64 v[72:73], v[66:67], v[72:73]
	v_add_f64 v[30:31], v[40:41], -v[6:7]
	v_add_f64 v[36:37], v[42:43], -v[8:9]
	;; [unrolled: 1-line block ×7, first 2 shown]
	v_add_f64 v[20:21], v[36:37], v[38:39]
	v_fma_f64 v[4:5], v[24:25], 2.0, -v[38:39]
	v_add_f64 v[18:19], v[30:31], -v[76:77]
	v_add_f64 v[10:11], v[78:79], -v[155:156]
	v_add_f64 v[12:13], v[153:154], v[157:158]
	v_fma_f64 v[211:212], v[36:37], 2.0, -v[20:21]
	v_fma_f64 v[36:37], v[42:43], 2.0, -v[36:37]
	;; [unrolled: 1-line block ×5, first 2 shown]
	v_fma_f64 v[6:7], v[10:11], s[10:11], v[18:19]
	v_fma_f64 v[14:15], v[78:79], 2.0, -v[10:11]
	v_fma_f64 v[30:31], v[40:41], 2.0, -v[30:31]
	v_fma_f64 v[8:9], v[12:13], s[10:11], v[20:21]
	s_delay_alu instid0(VALU_DEP_4) | instskip(NEXT) | instid1(VALU_DEP_2)
	v_fma_f64 v[6:7], v[12:13], s[0:1], v[6:7]
	v_fma_f64 v[8:9], v[10:11], s[10:11], v[8:9]
	v_fma_f64 v[10:11], v[153:154], 2.0, -v[12:13]
	v_fma_f64 v[12:13], v[14:15], s[0:1], v[209:210]
	s_delay_alu instid0(VALU_DEP_4) | instskip(NEXT) | instid1(VALU_DEP_4)
	v_fma_f64 v[18:19], v[18:19], 2.0, -v[6:7]
	v_fma_f64 v[20:21], v[20:21], 2.0, -v[8:9]
	s_delay_alu instid0(VALU_DEP_4) | instskip(NEXT) | instid1(VALU_DEP_4)
	v_fma_f64 v[16:17], v[10:11], s[0:1], v[211:212]
	v_fma_f64 v[10:11], v[10:11], s[0:1], v[12:13]
	ds_store_b128 v68, v[6:9] offset:5600
	v_fma_f64 v[6:7], v[26:27], 2.0, -v[76:77]
	v_fma_f64 v[26:27], v[32:33], 2.0, -v[78:79]
	;; [unrolled: 1-line block ×5, first 2 shown]
	v_add_f64 v[28:29], v[30:31], -v[4:5]
	v_fma_f64 v[12:13], v[14:15], s[10:11], v[16:17]
	v_fma_f64 v[14:15], v[54:55], s[10:11], v[46:47]
	v_fma_f64 v[16:17], v[72:73], s[10:11], v[60:61]
	v_add_f64 v[34:35], v[36:37], -v[6:7]
	ds_store_b128 v68, v[18:21] offset:2400
	v_add_f64 v[38:39], v[32:33], -v[8:9]
	v_add_f64 v[40:41], v[26:27], -v[22:23]
	v_fma_f64 v[8:9], v[0:1], 2.0, -v[46:47]
	v_fma_f64 v[0:1], v[48:49], 2.0, -v[54:55]
	ds_store_b128 v68, v[10:13] offset:4000
	v_fma_f64 v[213:214], v[52:53], s[0:1], v[14:15]
	v_fma_f64 v[14:15], v[52:53], s[10:11], v[44:45]
	;; [unrolled: 1-line block ×3, first 2 shown]
	v_add_f64 v[4:5], v[28:29], -v[38:39]
	v_add_f64 v[6:7], v[34:35], v[40:41]
	s_delay_alu instid0(VALU_DEP_4) | instskip(SKIP_1) | instid1(VALU_DEP_4)
	v_fma_f64 v[217:218], v[54:55], s[10:11], v[14:15]
	v_fma_f64 v[14:15], v[74:75], s[10:11], v[62:63]
	v_fma_f64 v[22:23], v[28:29], 2.0, -v[4:5]
	s_delay_alu instid0(VALU_DEP_4)
	v_fma_f64 v[24:25], v[34:35], 2.0, -v[6:7]
	ds_store_b128 v68, v[4:7] offset:4800
	v_fma_f64 v[4:5], v[56:57], 2.0, -v[62:63]
	v_fma_f64 v[6:7], v[64:65], 2.0, -v[74:75]
	v_fma_f64 v[221:222], v[16:17], s[18:19], v[217:218]
	v_fma_f64 v[14:15], v[72:73], s[0:1], v[14:15]
	v_fma_f64 v[223:224], v[44:45], 2.0, -v[217:218]
	v_fma_f64 v[44:45], v[58:59], 2.0, -v[60:61]
	v_fma_f64 v[48:49], v[6:7], s[0:1], v[4:5]
	s_delay_alu instid0(VALU_DEP_4) | instskip(SKIP_3) | instid1(VALU_DEP_4)
	v_fma_f64 v[246:247], v[14:15], s[16:17], v[221:222]
	v_fma_f64 v[221:222], v[46:47], 2.0, -v[213:214]
	v_fma_f64 v[46:47], v[66:67], 2.0, -v[72:73]
	v_fma_f64 v[219:220], v[14:15], s[18:19], v[213:214]
	v_fma_f64 v[20:21], v[217:218], 2.0, -v[246:247]
	s_delay_alu instid0(VALU_DEP_3) | instskip(SKIP_1) | instid1(VALU_DEP_4)
	v_fma_f64 v[48:49], v[46:47], s[0:1], v[48:49]
	v_fma_f64 v[46:47], v[46:47], s[0:1], v[44:45]
	;; [unrolled: 1-line block ×3, first 2 shown]
	v_fma_f64 v[219:220], v[62:63], 2.0, -v[14:15]
	v_fma_f64 v[14:15], v[60:61], 2.0, -v[16:17]
	;; [unrolled: 1-line block ×3, first 2 shown]
	v_fma_f64 v[6:7], v[6:7], s[10:11], v[46:47]
	v_fma_f64 v[46:47], v[2:3], s[0:1], v[42:43]
	;; [unrolled: 1-line block ×4, first 2 shown]
	v_fma_f64 v[18:19], v[213:214], 2.0, -v[244:245]
	s_delay_alu instid0(VALU_DEP_4)
	v_fma_f64 v[46:47], v[0:1], s[10:11], v[46:47]
	v_fma_f64 v[0:1], v[0:1], s[0:1], v[8:9]
	;; [unrolled: 1-line block ×4, first 2 shown]
	ds_store_b128 v68, v[18:21] offset:2800
	v_fma_f64 v[18:19], v[209:210], 2.0, -v[10:11]
	v_fma_f64 v[20:21], v[211:212], 2.0, -v[12:13]
	;; [unrolled: 1-line block ×3, first 2 shown]
	v_fma_f64 v[50:51], v[2:3], s[0:1], v[0:1]
	v_fma_f64 v[0:1], v[6:7], s[16:17], v[46:47]
	ds_store_b128 v68, v[14:17] offset:4400
	v_fma_f64 v[10:11], v[223:224], 2.0, -v[16:17]
	v_fma_f64 v[16:17], v[30:31], 2.0, -v[28:29]
	v_cmp_gt_u16_e64 s0, 25, v83
	v_fma_f64 v[4:5], v[48:49], s[16:17], v[50:51]
	v_fma_f64 v[2:3], v[48:49], s[18:19], v[0:1]
	s_delay_alu instid0(VALU_DEP_2)
	v_fma_f64 v[0:1], v[6:7], s[12:13], v[4:5]
	v_fma_f64 v[4:5], v[44:45], 2.0, -v[6:7]
	v_fma_f64 v[44:45], v[8:9], 2.0, -v[50:51]
	ds_store_b128 v68, v[0:3] offset:5200
	ds_store_b128 v68, v[22:25] offset:1600
	v_fma_f64 v[8:9], v[4:5], s[12:13], v[42:43]
	v_fma_f64 v[6:7], v[52:53], s[12:13], v[44:45]
	v_fma_f64 v[12:13], v[50:51], 2.0, -v[0:1]
	v_fma_f64 v[24:25], v[36:37], 2.0, -v[34:35]
	;; [unrolled: 1-line block ×3, first 2 shown]
	s_delay_alu instid0(VALU_DEP_4)
	v_fma_f64 v[4:5], v[4:5], s[14:15], v[6:7]
	v_fma_f64 v[6:7], v[52:53], s[16:17], v[8:9]
	v_fma_f64 v[8:9], v[221:222], 2.0, -v[14:15]
	v_fma_f64 v[14:15], v[46:47], 2.0, -v[2:3]
	;; [unrolled: 1-line block ×3, first 2 shown]
	v_add_f64 v[0:1], v[16:17], -v[0:1]
	s_delay_alu instid0(VALU_DEP_2) | instskip(NEXT) | instid1(VALU_DEP_2)
	v_add_f64 v[2:3], v[24:25], -v[2:3]
	v_fma_f64 v[22:23], v[16:17], 2.0, -v[0:1]
	ds_store_b128 v68, v[0:3] offset:3200
	ds_store_b128 v68, v[18:21] offset:800
	;; [unrolled: 1-line block ×4, first 2 shown]
	v_fma_f64 v[24:25], v[24:25], 2.0, -v[2:3]
	v_fma_f64 v[0:1], v[44:45], 2.0, -v[4:5]
	;; [unrolled: 1-line block ×3, first 2 shown]
	ds_store_b128 v68, v[4:7] offset:3600
	ds_store_b128 v68, v[22:25]
	ds_store_b128 v68, v[0:3] offset:400
	ds_store_b128 v68, v[244:247] offset:6000
	s_waitcnt lgkmcnt(0)
	s_barrier
	buffer_gl0_inv
	ds_load_b128 v[16:19], v82
	ds_load_b128 v[12:15], v82 offset:1200
	ds_load_b128 v[52:55], v82 offset:12800
	;; [unrolled: 1-line block ×14, first 2 shown]
	s_and_saveexec_b32 s1, s0
	s_cbranch_execz .LBB0_13
; %bb.12:
	ds_load_b128 v[244:247], v82 offset:6000
	ds_load_b128 v[144:147], v82 offset:12400
	;; [unrolled: 1-line block ×3, first 2 shown]
.LBB0_13:
	s_or_b32 exec_lo, exec_lo, s1
	scratch_load_b32 v83, off, off          ; 4-byte Folded Reload
	s_mov_b32 s11, 0xbfebb67a
	s_waitcnt vmcnt(0)
	v_lshlrev_b32_e32 v78, 5, v83
	s_delay_alu instid0(VALU_DEP_1) | instskip(NEXT) | instid1(VALU_DEP_1)
	v_add_co_u32 v62, s1, s2, v78
	v_add_co_ci_u32_e64 v63, null, s3, 0, s1
	s_delay_alu instid0(VALU_DEP_2) | instskip(NEXT) | instid1(VALU_DEP_1)
	v_add_co_u32 v60, s1, 0x1000, v62
	v_add_co_ci_u32_e64 v61, s1, 0, v63, s1
	global_load_b128 v[64:67], v[60:61], off offset:2224
	s_waitcnt vmcnt(0) lgkmcnt(4)
	v_mul_f64 v[60:61], v[58:59], v[66:67]
	scratch_store_b128 off, v[64:67], off offset:352 ; 16-byte Folded Spill
	v_fma_f64 v[60:61], v[56:57], v[64:65], -v[60:61]
	v_mul_f64 v[56:57], v[56:57], v[66:67]
	s_delay_alu instid0(VALU_DEP_1) | instskip(SKIP_1) | instid1(VALU_DEP_1)
	v_fma_f64 v[56:57], v[58:59], v[64:65], v[56:57]
	v_add_co_u32 v58, s1, 0x18b0, v62
	v_add_co_ci_u32_e64 v59, s1, 0, v63, s1
	global_load_b128 v[64:67], v[58:59], off offset:16
	s_waitcnt vmcnt(0)
	v_mul_f64 v[58:59], v[54:55], v[66:67]
	s_delay_alu instid0(VALU_DEP_1) | instskip(SKIP_1) | instid1(VALU_DEP_1)
	v_fma_f64 v[58:59], v[52:53], v[64:65], -v[58:59]
	v_mul_f64 v[52:53], v[52:53], v[66:67]
	v_fma_f64 v[52:53], v[54:55], v[64:65], v[52:53]
	v_lshlrev_b32_e32 v54, 5, v152
	s_delay_alu instid0(VALU_DEP_1) | instskip(NEXT) | instid1(VALU_DEP_1)
	v_add_co_u32 v62, s1, s2, v54
	v_add_co_ci_u32_e64 v63, null, s3, 0, s1
	s_delay_alu instid0(VALU_DEP_2) | instskip(NEXT) | instid1(VALU_DEP_1)
	v_add_co_u32 v54, s1, 0x1000, v62
	v_add_co_ci_u32_e64 v55, s1, 0, v63, s1
	global_load_b128 v[152:155], v[54:55], off offset:2224
	s_waitcnt vmcnt(0)
	v_mul_f64 v[54:55], v[50:51], v[154:155]
	s_delay_alu instid0(VALU_DEP_1) | instskip(SKIP_1) | instid1(VALU_DEP_1)
	v_fma_f64 v[54:55], v[48:49], v[152:153], -v[54:55]
	v_mul_f64 v[48:49], v[48:49], v[154:155]
	v_fma_f64 v[48:49], v[50:51], v[152:153], v[48:49]
	v_add_co_u32 v50, s1, 0x18b0, v62
	s_delay_alu instid0(VALU_DEP_1) | instskip(SKIP_3) | instid1(VALU_DEP_1)
	v_add_co_ci_u32_e64 v51, s1, 0, v63, s1
	global_load_b128 v[156:159], v[50:51], off offset:16
	s_waitcnt vmcnt(0)
	v_mul_f64 v[50:51], v[46:47], v[158:159]
	v_fma_f64 v[50:51], v[44:45], v[156:157], -v[50:51]
	v_mul_f64 v[44:45], v[44:45], v[158:159]
	s_delay_alu instid0(VALU_DEP_1) | instskip(SKIP_1) | instid1(VALU_DEP_1)
	v_fma_f64 v[44:45], v[46:47], v[156:157], v[44:45]
	v_lshlrev_b32_e32 v46, 5, v208
	v_add_co_u32 v62, s1, s2, v46
	s_delay_alu instid0(VALU_DEP_1) | instskip(NEXT) | instid1(VALU_DEP_2)
	v_add_co_ci_u32_e64 v63, null, s3, 0, s1
	v_add_co_u32 v46, s1, 0x1000, v62
	s_delay_alu instid0(VALU_DEP_1) | instskip(SKIP_3) | instid1(VALU_DEP_1)
	v_add_co_ci_u32_e64 v47, s1, 0, v63, s1
	global_load_b128 v[208:211], v[46:47], off offset:2224
	s_waitcnt vmcnt(0)
	v_mul_f64 v[46:47], v[42:43], v[210:211]
	v_fma_f64 v[46:47], v[40:41], v[208:209], -v[46:47]
	v_mul_f64 v[40:41], v[40:41], v[210:211]
	s_delay_alu instid0(VALU_DEP_1) | instskip(SKIP_1) | instid1(VALU_DEP_1)
	v_fma_f64 v[40:41], v[42:43], v[208:209], v[40:41]
	v_add_co_u32 v42, s1, 0x18b0, v62
	v_add_co_ci_u32_e64 v43, s1, 0, v63, s1
	global_load_b128 v[212:215], v[42:43], off offset:16
	s_waitcnt vmcnt(0)
	v_mul_f64 v[42:43], v[38:39], v[214:215]
	s_delay_alu instid0(VALU_DEP_1) | instskip(SKIP_1) | instid1(VALU_DEP_1)
	v_fma_f64 v[42:43], v[36:37], v[212:213], -v[42:43]
	v_mul_f64 v[36:37], v[36:37], v[214:215]
	v_fma_f64 v[36:37], v[38:39], v[212:213], v[36:37]
	v_lshlrev_b32_e32 v38, 5, v216
	s_delay_alu instid0(VALU_DEP_1) | instskip(NEXT) | instid1(VALU_DEP_1)
	v_add_co_u32 v74, s1, s2, v38
	v_add_co_ci_u32_e64 v75, null, s3, 0, s1
	s_delay_alu instid0(VALU_DEP_2) | instskip(NEXT) | instid1(VALU_DEP_1)
	v_add_co_u32 v38, s1, 0x1000, v74
	v_add_co_ci_u32_e64 v39, s1, 0, v75, s1
	global_load_b128 v[216:219], v[38:39], off offset:2224
	s_waitcnt vmcnt(0) lgkmcnt(2)
	v_mul_f64 v[38:39], v[34:35], v[218:219]
	s_delay_alu instid0(VALU_DEP_1) | instskip(SKIP_2) | instid1(VALU_DEP_2)
	v_fma_f64 v[62:63], v[32:33], v[216:217], -v[38:39]
	v_mul_f64 v[32:33], v[32:33], v[218:219]
	v_add_f64 v[38:39], v[54:55], -v[50:51]
	v_fma_f64 v[72:73], v[34:35], v[216:217], v[32:33]
	v_add_co_u32 v32, s1, 0x18b0, v74
	s_delay_alu instid0(VALU_DEP_1) | instskip(SKIP_3) | instid1(VALU_DEP_1)
	v_add_co_ci_u32_e64 v33, s1, 0, v75, s1
	global_load_b128 v[220:223], v[32:33], off offset:16
	s_waitcnt vmcnt(0)
	v_mul_f64 v[32:33], v[30:31], v[222:223]
	v_fma_f64 v[74:75], v[28:29], v[220:221], -v[32:33]
	v_mul_f64 v[28:29], v[28:29], v[222:223]
	v_add_f64 v[32:33], v[48:49], -v[44:45]
	s_delay_alu instid0(VALU_DEP_2) | instskip(SKIP_1) | instid1(VALU_DEP_1)
	v_fma_f64 v[76:77], v[30:31], v[220:221], v[28:29]
	v_add_nc_u32_e32 v28, 0x2580, v78
	v_add_co_u32 v30, s1, s2, v28
	s_delay_alu instid0(VALU_DEP_1) | instskip(NEXT) | instid1(VALU_DEP_2)
	v_add_co_ci_u32_e64 v31, null, s3, 0, s1
	v_add_co_u32 v28, s1, 0x1000, v30
	s_delay_alu instid0(VALU_DEP_1) | instskip(SKIP_3) | instid1(VALU_DEP_1)
	v_add_co_ci_u32_e64 v29, s1, 0, v31, s1
	global_load_b128 v[224:227], v[28:29], off offset:2224
	s_waitcnt vmcnt(0) lgkmcnt(1)
	v_mul_f64 v[28:29], v[26:27], v[226:227]
	v_fma_f64 v[78:79], v[24:25], v[224:225], -v[28:29]
	v_mul_f64 v[24:25], v[24:25], v[226:227]
	v_add_f64 v[28:29], v[60:61], -v[58:59]
	s_delay_alu instid0(VALU_DEP_2) | instskip(SKIP_1) | instid1(VALU_DEP_1)
	v_fma_f64 v[248:249], v[26:27], v[224:225], v[24:25]
	v_add_co_u32 v24, s1, 0x18b0, v30
	v_add_co_ci_u32_e64 v25, s1, 0, v31, s1
	global_load_b128 v[228:231], v[24:25], off offset:16
	s_waitcnt vmcnt(0) lgkmcnt(0)
	v_mul_f64 v[24:25], v[22:23], v[230:231]
	s_delay_alu instid0(VALU_DEP_1) | instskip(SKIP_1) | instid1(VALU_DEP_1)
	v_fma_f64 v[250:251], v[20:21], v[228:229], -v[24:25]
	v_mul_f64 v[20:21], v[20:21], v[230:231]
	v_fma_f64 v[252:253], v[22:23], v[228:229], v[20:21]
	v_add_co_u32 v20, s1, 0x177, v83
	v_add_co_u32 v21, s10, 0xffffffe7, v83
	s_delay_alu instid0(VALU_DEP_1) | instskip(NEXT) | instid1(VALU_DEP_2)
	v_add_co_ci_u32_e64 v22, null, 0, -1, s10
	v_cndmask_b32_e64 v20, v21, v20, s0
	v_add_co_ci_u32_e64 v21, null, 0, 0, s1
	s_delay_alu instid0(VALU_DEP_1) | instskip(NEXT) | instid1(VALU_DEP_1)
	v_cndmask_b32_e64 v21, v22, v21, s0
	v_lshlrev_b64 v[20:21], 5, v[20:21]
	s_delay_alu instid0(VALU_DEP_1) | instskip(NEXT) | instid1(VALU_DEP_1)
	v_add_co_u32 v22, s1, s2, v20
	v_add_co_ci_u32_e64 v23, s1, s3, v21, s1
	s_mov_b32 s2, 0xe8584caa
	s_delay_alu instid0(VALU_DEP_2) | instskip(NEXT) | instid1(VALU_DEP_1)
	v_add_co_u32 v20, s1, 0x1000, v22
	v_add_co_ci_u32_e64 v21, s1, 0, v23, s1
	s_mov_b32 s3, 0x3febb67a
	s_mov_b32 s10, s2
	global_load_b128 v[24:27], v[20:21], off offset:2224
	s_waitcnt vmcnt(0)
	v_mul_f64 v[20:21], v[146:147], v[26:27]
	scratch_store_b128 off, v[24:27], off offset:372 ; 16-byte Folded Spill
	v_fma_f64 v[254:255], v[144:145], v[24:25], -v[20:21]
	v_mul_f64 v[20:21], v[144:145], v[26:27]
	s_delay_alu instid0(VALU_DEP_1) | instskip(SKIP_1) | instid1(VALU_DEP_1)
	v_fma_f64 v[144:145], v[146:147], v[24:25], v[20:21]
	v_add_co_u32 v20, s1, 0x18b0, v22
	v_add_co_ci_u32_e64 v21, s1, 0, v23, s1
	global_load_b128 v[22:25], v[20:21], off offset:16
	s_waitcnt vmcnt(0)
	v_mul_f64 v[20:21], v[242:243], v[24:25]
	scratch_store_b128 off, v[22:25], off offset:388 ; 16-byte Folded Spill
	v_fma_f64 v[146:147], v[240:241], v[22:23], -v[20:21]
	v_mul_f64 v[20:21], v[240:241], v[24:25]
	v_add_f64 v[24:25], v[56:57], -v[52:53]
	s_delay_alu instid0(VALU_DEP_2) | instskip(SKIP_1) | instid1(VALU_DEP_1)
	v_fma_f64 v[240:241], v[242:243], v[22:23], v[20:21]
	v_add_f64 v[20:21], v[60:61], v[58:59]
	v_fma_f64 v[22:23], v[20:21], -0.5, v[16:17]
	v_add_f64 v[20:21], v[56:57], v[52:53]
	v_add_f64 v[16:17], v[16:17], v[60:61]
	v_add_f64 v[60:61], v[78:79], -v[250:251]
	s_delay_alu instid0(VALU_DEP_3)
	v_fma_f64 v[26:27], v[20:21], -0.5, v[18:19]
	v_fma_f64 v[20:21], v[24:25], s[2:3], v[22:23]
	v_fma_f64 v[24:25], v[24:25], s[10:11], v[22:23]
	v_add_f64 v[18:19], v[18:19], v[56:57]
	v_add_f64 v[16:17], v[16:17], v[58:59]
	v_add_f64 v[56:57], v[248:249], -v[252:253]
	v_fma_f64 v[22:23], v[28:29], s[10:11], v[26:27]
	v_fma_f64 v[26:27], v[28:29], s[2:3], v[26:27]
	v_add_f64 v[28:29], v[54:55], v[50:51]
	v_add_f64 v[18:19], v[18:19], v[52:53]
	v_add_f64 v[52:53], v[62:63], -v[74:75]
	s_delay_alu instid0(VALU_DEP_3)
	v_fma_f64 v[30:31], v[28:29], -0.5, v[12:13]
	v_add_f64 v[28:29], v[48:49], v[44:45]
	ds_store_b128 v82, v[16:19]
	scratch_load_b32 v16, off, off offset:12 ; 4-byte Folded Reload
	v_add_f64 v[12:13], v[12:13], v[54:55]
	v_fma_f64 v[34:35], v[28:29], -0.5, v[14:15]
	v_add_f64 v[14:15], v[14:15], v[48:49]
	v_fma_f64 v[28:29], v[32:33], s[2:3], v[30:31]
	v_fma_f64 v[32:33], v[32:33], s[10:11], v[30:31]
	v_add_f64 v[12:13], v[12:13], v[50:51]
	v_add_f64 v[48:49], v[72:73], -v[76:77]
	v_fma_f64 v[30:31], v[38:39], s[10:11], v[34:35]
	v_fma_f64 v[34:35], v[38:39], s[2:3], v[34:35]
	v_add_f64 v[38:39], v[46:47], v[42:43]
	v_add_f64 v[14:15], v[14:15], v[44:45]
	;; [unrolled: 1-line block ×3, first 2 shown]
	s_delay_alu instid0(VALU_DEP_3) | instskip(SKIP_1) | instid1(VALU_DEP_3)
	v_fma_f64 v[38:39], v[38:39], -0.5, v[8:9]
	v_add_f64 v[8:9], v[8:9], v[46:47]
	v_fma_f64 v[44:45], v[44:45], -0.5, v[10:11]
	v_add_f64 v[10:11], v[10:11], v[40:41]
	v_add_f64 v[40:41], v[40:41], -v[36:37]
	s_delay_alu instid0(VALU_DEP_4) | instskip(SKIP_1) | instid1(VALU_DEP_4)
	v_add_f64 v[8:9], v[8:9], v[42:43]
	v_add_f64 v[42:43], v[46:47], -v[42:43]
	v_add_f64 v[10:11], v[10:11], v[36:37]
	s_delay_alu instid0(VALU_DEP_4) | instskip(SKIP_1) | instid1(VALU_DEP_4)
	v_fma_f64 v[36:37], v[40:41], s[2:3], v[38:39]
	v_fma_f64 v[40:41], v[40:41], s[10:11], v[38:39]
	;; [unrolled: 1-line block ×4, first 2 shown]
	v_add_f64 v[44:45], v[62:63], v[74:75]
	s_delay_alu instid0(VALU_DEP_1) | instskip(SKIP_3) | instid1(VALU_DEP_3)
	v_fma_f64 v[46:47], v[44:45], -0.5, v[4:5]
	v_add_f64 v[44:45], v[72:73], v[76:77]
	v_add_f64 v[4:5], v[4:5], v[62:63]
	;; [unrolled: 1-line block ×3, first 2 shown]
	v_fma_f64 v[50:51], v[44:45], -0.5, v[6:7]
	v_fma_f64 v[44:45], v[48:49], s[2:3], v[46:47]
	v_fma_f64 v[48:49], v[48:49], s[10:11], v[46:47]
	v_add_f64 v[6:7], v[6:7], v[72:73]
	v_add_f64 v[72:73], v[246:247], v[144:145]
	;; [unrolled: 1-line block ×3, first 2 shown]
	v_fma_f64 v[62:63], v[62:63], -0.5, v[246:247]
	v_add_f64 v[74:75], v[244:245], v[254:255]
	v_fma_f64 v[46:47], v[52:53], s[10:11], v[50:51]
	v_fma_f64 v[50:51], v[52:53], s[2:3], v[50:51]
	v_add_f64 v[52:53], v[78:79], v[250:251]
	v_add_f64 v[6:7], v[6:7], v[76:77]
	v_add_f64 v[76:77], v[144:145], -v[240:241]
	s_waitcnt vmcnt(0)
	v_lshl_add_u32 v83, v83, 4, v16
	s_delay_alu instid0(VALU_DEP_4) | instskip(SKIP_2) | instid1(VALU_DEP_2)
	v_fma_f64 v[54:55], v[52:53], -0.5, v[0:1]
	v_add_f64 v[52:53], v[248:249], v[252:253]
	v_add_f64 v[0:1], v[0:1], v[78:79]
	v_fma_f64 v[58:59], v[52:53], -0.5, v[2:3]
	s_delay_alu instid0(VALU_DEP_4) | instskip(SKIP_1) | instid1(VALU_DEP_4)
	v_fma_f64 v[52:53], v[56:57], s[2:3], v[54:55]
	v_fma_f64 v[56:57], v[56:57], s[10:11], v[54:55]
	v_add_f64 v[0:1], v[0:1], v[250:251]
	v_add_f64 v[250:251], v[72:73], v[240:241]
	v_add_f64 v[72:73], v[254:255], -v[146:147]
	v_add_f64 v[2:3], v[2:3], v[248:249]
	v_add_f64 v[248:249], v[74:75], v[146:147]
	v_fma_f64 v[54:55], v[60:61], s[10:11], v[58:59]
	v_fma_f64 v[58:59], v[60:61], s[2:3], v[58:59]
	v_add_f64 v[60:61], v[254:255], v[146:147]
	v_fma_f64 v[242:243], v[72:73], s[10:11], v[62:63]
	v_fma_f64 v[246:247], v[72:73], s[2:3], v[62:63]
	v_add_f64 v[2:3], v[2:3], v[252:253]
	ds_store_b128 v83, v[20:23] offset:6400
	ds_store_b128 v83, v[24:27] offset:12800
	;; [unrolled: 1-line block ×14, first 2 shown]
	v_fma_f64 v[60:61], v[60:61], -0.5, v[244:245]
	s_delay_alu instid0(VALU_DEP_1)
	v_fma_f64 v[240:241], v[76:77], s[2:3], v[60:61]
	v_fma_f64 v[244:245], v[76:77], s[10:11], v[60:61]
	s_and_saveexec_b32 s1, s0
	s_cbranch_execz .LBB0_15
; %bb.14:
	ds_store_b128 v83, v[248:251] offset:6000
	ds_store_b128 v83, v[240:243] offset:12400
	;; [unrolled: 1-line block ×3, first 2 shown]
.LBB0_15:
	s_or_b32 exec_lo, exec_lo, s1
	s_waitcnt lgkmcnt(0)
	s_waitcnt_vscnt null, 0x0
	s_barrier
	buffer_gl0_inv
	scratch_load_b64 v[0:1], off, off offset:4 ; 8-byte Folded Reload
	v_add_co_u32 v16, s1, 0x4b00, v80
	s_delay_alu instid0(VALU_DEP_1) | instskip(SKIP_1) | instid1(VALU_DEP_1)
	v_add_co_ci_u32_e64 v17, s1, 0, v81, s1
	v_add_co_u32 v62, s1, 0x6000, v80
	v_add_co_ci_u32_e64 v63, s1, 0, v81, s1
	v_add_co_u32 v76, s1, 0x7000, v80
	s_delay_alu instid0(VALU_DEP_1)
	v_add_co_ci_u32_e64 v77, s1, 0, v81, s1
	global_load_b128 v[10:13], v[62:63], off offset:2304
	ds_load_b128 v[22:25], v82
	ds_load_b128 v[58:61], v82 offset:2400
	global_load_b128 v[18:21], v[76:77], off offset:2048
	v_add_co_u32 v78, s1, 0x8000, v80
	s_delay_alu instid0(VALU_DEP_1)
	v_add_co_ci_u32_e64 v79, s1, 0, v81, s1
	ds_load_b128 v[46:49], v82 offset:12720
	ds_load_b128 v[252:255], v82 offset:13920
	global_load_b128 v[6:9], v[16:17], off offset:3840
	ds_load_b128 v[72:75], v82 offset:6240
	ds_load_b128 v[40:43], v82 offset:8880
	;; [unrolled: 1-line block ×5, first 2 shown]
	s_waitcnt vmcnt(3)
	global_load_b128 v[2:5], v[0:1], off offset:2816
	s_waitcnt vmcnt(0) lgkmcnt(8)
	v_mul_f64 v[0:1], v[24:25], v[4:5]
	v_mul_f64 v[4:5], v[22:23], v[4:5]
	s_delay_alu instid0(VALU_DEP_2) | instskip(NEXT) | instid1(VALU_DEP_2)
	v_fma_f64 v[0:1], v[22:23], v[2:3], -v[0:1]
	v_fma_f64 v[2:3], v[24:25], v[2:3], v[4:5]
	ds_load_b128 v[22:25], v82 offset:3840
	s_waitcnt lgkmcnt(0)
	v_mul_f64 v[4:5], v[24:25], v[8:9]
	v_mul_f64 v[8:9], v[22:23], v[8:9]
	s_delay_alu instid0(VALU_DEP_2) | instskip(NEXT) | instid1(VALU_DEP_2)
	v_fma_f64 v[4:5], v[22:23], v[6:7], -v[4:5]
	v_fma_f64 v[6:7], v[24:25], v[6:7], v[8:9]
	ds_load_b128 v[22:25], v82 offset:7680
	s_waitcnt lgkmcnt(0)
	;; [unrolled: 7-line block ×3, first 2 shown]
	v_mul_f64 v[22:23], v[14:15], v[20:21]
	v_mul_f64 v[20:21], v[12:13], v[20:21]
	s_delay_alu instid0(VALU_DEP_2) | instskip(NEXT) | instid1(VALU_DEP_2)
	v_fma_f64 v[12:13], v[12:13], v[18:19], -v[22:23]
	v_fma_f64 v[14:15], v[14:15], v[18:19], v[20:21]
	global_load_b128 v[18:21], v[78:79], off offset:1792
	ds_load_b128 v[22:25], v82 offset:15360
	s_waitcnt vmcnt(0) lgkmcnt(0)
	v_mul_f64 v[26:27], v[24:25], v[20:21]
	v_mul_f64 v[28:29], v[22:23], v[20:21]
	s_delay_alu instid0(VALU_DEP_2) | instskip(NEXT) | instid1(VALU_DEP_2)
	v_fma_f64 v[20:21], v[22:23], v[18:19], -v[26:27]
	v_fma_f64 v[22:23], v[24:25], v[18:19], v[28:29]
	global_load_b128 v[24:27], v[16:17], off offset:1200
	ds_load_b128 v[28:31], v82 offset:1200
	s_waitcnt vmcnt(0) lgkmcnt(0)
	v_mul_f64 v[18:19], v[30:31], v[26:27]
	v_mul_f64 v[32:33], v[28:29], v[26:27]
	s_delay_alu instid0(VALU_DEP_2) | instskip(SKIP_1) | instid1(VALU_DEP_1)
	v_fma_f64 v[26:27], v[28:29], v[24:25], -v[18:19]
	v_add_co_u32 v18, s1, 0x5000, v80
	v_add_co_ci_u32_e64 v19, s1, 0, v81, s1
	s_delay_alu instid0(VALU_DEP_4) | instskip(SKIP_4) | instid1(VALU_DEP_2)
	v_fma_f64 v[28:29], v[30:31], v[24:25], v[32:33]
	global_load_b128 v[30:33], v[18:19], off offset:3760
	s_waitcnt vmcnt(0)
	v_mul_f64 v[18:19], v[36:37], v[32:33]
	v_mul_f64 v[24:25], v[34:35], v[32:33]
	v_fma_f64 v[32:33], v[34:35], v[30:31], -v[18:19]
	s_delay_alu instid0(VALU_DEP_2) | instskip(SKIP_4) | instid1(VALU_DEP_2)
	v_fma_f64 v[34:35], v[36:37], v[30:31], v[24:25]
	global_load_b128 v[36:39], v[62:63], off offset:3504
	s_waitcnt vmcnt(0)
	v_mul_f64 v[18:19], v[42:43], v[38:39]
	v_mul_f64 v[24:25], v[40:41], v[38:39]
	v_fma_f64 v[38:39], v[40:41], v[36:37], -v[18:19]
	s_delay_alu instid0(VALU_DEP_2) | instskip(SKIP_4) | instid1(VALU_DEP_2)
	;; [unrolled: 7-line block ×6, first 2 shown]
	v_fma_f64 v[74:75], v[74:75], v[60:61], v[24:25]
	global_load_b128 v[60:63], v[76:77], off offset:608
	s_waitcnt vmcnt(0)
	v_mul_f64 v[18:19], v[146:147], v[62:63]
	v_mul_f64 v[24:25], v[144:145], v[62:63]
	v_fma_f64 v[144:145], v[144:145], v[60:61], -v[18:19]
	s_delay_alu instid0(VALU_DEP_2)
	v_fma_f64 v[146:147], v[146:147], v[60:61], v[24:25]
	global_load_b128 v[60:63], v[78:79], off offset:352
	ds_load_b128 v[76:79], v82 offset:17760
	s_waitcnt vmcnt(0)
	v_mul_f64 v[18:19], v[254:255], v[62:63]
	v_mul_f64 v[24:25], v[252:253], v[62:63]
	s_delay_alu instid0(VALU_DEP_2) | instskip(SKIP_1) | instid1(VALU_DEP_1)
	v_fma_f64 v[252:253], v[252:253], v[60:61], -v[18:19]
	v_add_co_u32 v18, s1, 0x9000, v80
	v_add_co_ci_u32_e64 v19, s1, 0, v81, s1
	s_delay_alu instid0(VALU_DEP_4) | instskip(SKIP_4) | instid1(VALU_DEP_2)
	v_fma_f64 v[254:255], v[254:255], v[60:61], v[24:25]
	global_load_b128 v[60:63], v[18:19], off offset:96
	s_waitcnt vmcnt(0) lgkmcnt(0)
	v_mul_f64 v[18:19], v[78:79], v[62:63]
	v_mul_f64 v[24:25], v[76:77], v[62:63]
	v_fma_f64 v[76:77], v[76:77], v[60:61], -v[18:19]
	s_delay_alu instid0(VALU_DEP_2)
	v_fma_f64 v[78:79], v[78:79], v[60:61], v[24:25]
	ds_store_b128 v82, v[0:3]
	ds_store_b128 v82, v[4:7] offset:3840
	ds_store_b128 v82, v[8:11] offset:7680
	;; [unrolled: 1-line block ×14, first 2 shown]
	s_and_saveexec_b32 s3, vcc_lo
	s_cbranch_execz .LBB0_17
; %bb.16:
	global_load_b128 v[0:3], v[16:17], off offset:3600
	v_add_co_u32 v4, s1, 0x1000, v16
	s_delay_alu instid0(VALU_DEP_1) | instskip(SKIP_1) | instid1(VALU_DEP_1)
	v_add_co_ci_u32_e64 v5, s1, 0, v17, s1
	v_add_co_u32 v8, s1, 0x2000, v16
	v_add_co_ci_u32_e64 v9, s1, 0, v17, s1
	global_load_b128 v[4:7], v[4:5], off offset:3344
	v_add_co_u32 v12, s1, 0x3000, v16
	global_load_b128 v[8:11], v[8:9], off offset:3088
	v_add_co_u32 v16, s2, 0x4000, v16
	v_add_co_ci_u32_e64 v13, s1, 0, v17, s1
	v_add_co_ci_u32_e64 v17, s1, 0, v17, s2
	s_clause 0x1
	global_load_b128 v[12:15], v[12:13], off offset:2832
	global_load_b128 v[16:19], v[16:17], off offset:2576
	ds_load_b128 v[20:23], v83 offset:3600
	s_waitcnt vmcnt(4) lgkmcnt(0)
	v_mul_f64 v[24:25], v[22:23], v[2:3]
	v_mul_f64 v[2:3], v[20:21], v[2:3]
	s_delay_alu instid0(VALU_DEP_2) | instskip(NEXT) | instid1(VALU_DEP_2)
	v_fma_f64 v[20:21], v[20:21], v[0:1], -v[24:25]
	v_fma_f64 v[22:23], v[22:23], v[0:1], v[2:3]
	ds_store_b128 v83, v[20:23] offset:3600
	ds_load_b128 v[0:3], v82 offset:7440
	ds_load_b128 v[20:23], v82 offset:11280
	s_waitcnt vmcnt(3) lgkmcnt(1)
	v_mul_f64 v[24:25], v[2:3], v[6:7]
	v_mul_f64 v[6:7], v[0:1], v[6:7]
	s_waitcnt vmcnt(2) lgkmcnt(0)
	v_mul_f64 v[28:29], v[22:23], v[10:11]
	v_mul_f64 v[10:11], v[20:21], v[10:11]
	s_delay_alu instid0(VALU_DEP_4) | instskip(NEXT) | instid1(VALU_DEP_4)
	v_fma_f64 v[0:1], v[0:1], v[4:5], -v[24:25]
	v_fma_f64 v[2:3], v[2:3], v[4:5], v[6:7]
	ds_load_b128 v[4:7], v82 offset:15120
	ds_load_b128 v[24:27], v82 offset:18960
	v_fma_f64 v[20:21], v[20:21], v[8:9], -v[28:29]
	v_fma_f64 v[22:23], v[22:23], v[8:9], v[10:11]
	s_waitcnt vmcnt(1) lgkmcnt(1)
	v_mul_f64 v[8:9], v[6:7], v[14:15]
	v_mul_f64 v[10:11], v[4:5], v[14:15]
	s_waitcnt vmcnt(0) lgkmcnt(0)
	v_mul_f64 v[14:15], v[26:27], v[18:19]
	v_mul_f64 v[18:19], v[24:25], v[18:19]
	s_delay_alu instid0(VALU_DEP_4) | instskip(NEXT) | instid1(VALU_DEP_4)
	v_fma_f64 v[4:5], v[4:5], v[12:13], -v[8:9]
	v_fma_f64 v[6:7], v[6:7], v[12:13], v[10:11]
	s_delay_alu instid0(VALU_DEP_4) | instskip(NEXT) | instid1(VALU_DEP_4)
	v_fma_f64 v[8:9], v[24:25], v[16:17], -v[14:15]
	v_fma_f64 v[10:11], v[26:27], v[16:17], v[18:19]
	ds_store_b128 v82, v[0:3] offset:7440
	ds_store_b128 v82, v[20:23] offset:11280
	;; [unrolled: 1-line block ×4, first 2 shown]
.LBB0_17:
	s_or_b32 exec_lo, exec_lo, s3
	s_waitcnt lgkmcnt(0)
	s_barrier
	buffer_gl0_inv
	ds_load_b128 v[12:15], v82
	ds_load_b128 v[44:47], v82 offset:1200
	ds_load_b128 v[36:39], v82 offset:7680
	;; [unrolled: 1-line block ×14, first 2 shown]
	s_and_saveexec_b32 s1, vcc_lo
	s_cbranch_execz .LBB0_19
; %bb.18:
	ds_load_b128 v[248:251], v83 offset:3600
	ds_load_b128 v[240:243], v83 offset:7440
	;; [unrolled: 1-line block ×5, first 2 shown]
.LBB0_19:
	s_or_b32 exec_lo, exec_lo, s1
	s_waitcnt lgkmcnt(8)
	v_add_f64 v[0:1], v[12:13], v[48:49]
	v_add_f64 v[2:3], v[50:51], -v[34:35]
	s_mov_b32 s14, 0x134454ff
	s_mov_b32 s15, 0xbfee6f0e
	s_waitcnt lgkmcnt(4)
	v_add_f64 v[10:11], v[38:39], -v[42:43]
	v_add_f64 v[8:9], v[48:49], -v[36:37]
	;; [unrolled: 1-line block ×3, first 2 shown]
	s_mov_b32 s2, 0x4755a5e
	s_mov_b32 s3, 0xbfe2cf23
	;; [unrolled: 1-line block ×8, first 2 shown]
	v_add_f64 v[18:19], v[40:41], -v[32:33]
	s_waitcnt lgkmcnt(0)
	v_add_f64 v[76:77], v[24:25], -v[20:21]
	v_add_f64 v[78:79], v[236:237], -v[232:233]
	s_barrier
	buffer_gl0_inv
	v_add_f64 v[0:1], v[0:1], v[36:37]
	v_add_f64 v[16:17], v[8:9], v[16:17]
	s_delay_alu instid0(VALU_DEP_2) | instskip(NEXT) | instid1(VALU_DEP_1)
	v_add_f64 v[0:1], v[0:1], v[40:41]
	v_add_f64 v[4:5], v[0:1], v[32:33]
	;; [unrolled: 1-line block ×3, first 2 shown]
	s_delay_alu instid0(VALU_DEP_1) | instskip(NEXT) | instid1(VALU_DEP_1)
	v_fma_f64 v[0:1], v[0:1], -0.5, v[12:13]
	v_fma_f64 v[6:7], v[2:3], s[14:15], v[0:1]
	v_fma_f64 v[0:1], v[2:3], s[12:13], v[0:1]
	s_delay_alu instid0(VALU_DEP_2) | instskip(NEXT) | instid1(VALU_DEP_2)
	v_fma_f64 v[6:7], v[10:11], s[2:3], v[6:7]
	v_fma_f64 v[0:1], v[10:11], s[16:17], v[0:1]
	s_delay_alu instid0(VALU_DEP_2) | instskip(SKIP_1) | instid1(VALU_DEP_3)
	v_fma_f64 v[8:9], v[16:17], s[10:11], v[6:7]
	v_add_f64 v[6:7], v[48:49], v[32:33]
	v_fma_f64 v[0:1], v[16:17], s[10:11], v[0:1]
	v_add_f64 v[16:17], v[36:37], -v[48:49]
	v_add_f64 v[32:33], v[48:49], -v[32:33]
	;; [unrolled: 1-line block ×5, first 2 shown]
	v_fma_f64 v[6:7], v[6:7], -0.5, v[12:13]
	v_add_f64 v[18:19], v[16:17], v[18:19]
	s_delay_alu instid0(VALU_DEP_2) | instskip(SKIP_1) | instid1(VALU_DEP_2)
	v_fma_f64 v[12:13], v[10:11], s[12:13], v[6:7]
	v_fma_f64 v[6:7], v[10:11], s[14:15], v[6:7]
	;; [unrolled: 1-line block ×3, first 2 shown]
	s_delay_alu instid0(VALU_DEP_2) | instskip(NEXT) | instid1(VALU_DEP_2)
	v_fma_f64 v[2:3], v[2:3], s[16:17], v[6:7]
	v_fma_f64 v[16:17], v[18:19], s[10:11], v[12:13]
	s_delay_alu instid0(VALU_DEP_2) | instskip(SKIP_2) | instid1(VALU_DEP_2)
	v_fma_f64 v[12:13], v[18:19], s[10:11], v[2:3]
	v_add_f64 v[2:3], v[14:15], v[50:51]
	v_add_f64 v[18:19], v[50:51], -v[38:39]
	v_add_f64 v[2:3], v[2:3], v[38:39]
	s_delay_alu instid0(VALU_DEP_2) | instskip(SKIP_1) | instid1(VALU_DEP_3)
	v_add_f64 v[18:19], v[18:19], v[40:41]
	v_add_f64 v[40:41], v[144:145], -v[60:61]
	v_add_f64 v[2:3], v[2:3], v[42:43]
	s_delay_alu instid0(VALU_DEP_2) | instskip(NEXT) | instid1(VALU_DEP_2)
	v_add_f64 v[48:49], v[40:41], v[48:49]
	v_add_f64 v[6:7], v[2:3], v[34:35]
	;; [unrolled: 1-line block ×3, first 2 shown]
	v_add_f64 v[38:39], v[38:39], -v[50:51]
	s_delay_alu instid0(VALU_DEP_2) | instskip(NEXT) | instid1(VALU_DEP_1)
	v_fma_f64 v[2:3], v[2:3], -0.5, v[14:15]
	v_fma_f64 v[10:11], v[32:33], s[12:13], v[2:3]
	v_fma_f64 v[2:3], v[32:33], s[14:15], v[2:3]
	s_delay_alu instid0(VALU_DEP_2) | instskip(NEXT) | instid1(VALU_DEP_2)
	v_fma_f64 v[10:11], v[36:37], s[16:17], v[10:11]
	v_fma_f64 v[2:3], v[36:37], s[2:3], v[2:3]
	s_delay_alu instid0(VALU_DEP_2) | instskip(NEXT) | instid1(VALU_DEP_2)
	v_fma_f64 v[10:11], v[18:19], s[10:11], v[10:11]
	v_fma_f64 v[2:3], v[18:19], s[10:11], v[2:3]
	v_add_f64 v[18:19], v[50:51], v[34:35]
	v_add_f64 v[34:35], v[42:43], -v[34:35]
	v_add_f64 v[42:43], v[62:63], -v[74:75]
	;; [unrolled: 1-line block ×3, first 2 shown]
	s_delay_alu instid0(VALU_DEP_4) | instskip(NEXT) | instid1(VALU_DEP_4)
	v_fma_f64 v[14:15], v[18:19], -0.5, v[14:15]
	v_add_f64 v[34:35], v[38:39], v[34:35]
	s_delay_alu instid0(VALU_DEP_2) | instskip(SKIP_1) | instid1(VALU_DEP_2)
	v_fma_f64 v[18:19], v[36:37], s[14:15], v[14:15]
	v_fma_f64 v[14:15], v[36:37], s[12:13], v[14:15]
	;; [unrolled: 1-line block ×3, first 2 shown]
	s_delay_alu instid0(VALU_DEP_2) | instskip(SKIP_1) | instid1(VALU_DEP_3)
	v_fma_f64 v[14:15], v[32:33], s[2:3], v[14:15]
	v_add_f64 v[32:33], v[44:45], v[144:145]
	v_fma_f64 v[18:19], v[34:35], s[10:11], v[18:19]
	s_delay_alu instid0(VALU_DEP_3) | instskip(NEXT) | instid1(VALU_DEP_3)
	v_fma_f64 v[14:15], v[34:35], s[10:11], v[14:15]
	v_add_f64 v[32:33], v[32:33], v[60:61]
	v_add_f64 v[34:35], v[146:147], -v[58:59]
	s_delay_alu instid0(VALU_DEP_2) | instskip(NEXT) | instid1(VALU_DEP_1)
	v_add_f64 v[32:33], v[32:33], v[72:73]
	v_add_f64 v[36:37], v[32:33], v[56:57]
	;; [unrolled: 1-line block ×3, first 2 shown]
	s_delay_alu instid0(VALU_DEP_1) | instskip(NEXT) | instid1(VALU_DEP_1)
	v_fma_f64 v[32:33], v[32:33], -0.5, v[44:45]
	v_fma_f64 v[38:39], v[34:35], s[14:15], v[32:33]
	v_fma_f64 v[32:33], v[34:35], s[12:13], v[32:33]
	s_delay_alu instid0(VALU_DEP_2) | instskip(NEXT) | instid1(VALU_DEP_2)
	v_fma_f64 v[38:39], v[42:43], s[2:3], v[38:39]
	v_fma_f64 v[32:33], v[42:43], s[16:17], v[32:33]
	s_delay_alu instid0(VALU_DEP_2) | instskip(SKIP_1) | instid1(VALU_DEP_3)
	v_fma_f64 v[40:41], v[48:49], s[10:11], v[38:39]
	v_add_f64 v[38:39], v[144:145], v[56:57]
	v_fma_f64 v[32:33], v[48:49], s[10:11], v[32:33]
	v_add_f64 v[48:49], v[60:61], -v[144:145]
	v_add_f64 v[56:57], v[144:145], -v[56:57]
	;; [unrolled: 1-line block ×4, first 2 shown]
	v_fma_f64 v[38:39], v[38:39], -0.5, v[44:45]
	v_add_f64 v[50:51], v[48:49], v[50:51]
	s_delay_alu instid0(VALU_DEP_2) | instskip(SKIP_1) | instid1(VALU_DEP_2)
	v_fma_f64 v[44:45], v[42:43], s[12:13], v[38:39]
	v_fma_f64 v[38:39], v[42:43], s[14:15], v[38:39]
	;; [unrolled: 1-line block ×3, first 2 shown]
	s_delay_alu instid0(VALU_DEP_2) | instskip(NEXT) | instid1(VALU_DEP_2)
	v_fma_f64 v[34:35], v[34:35], s[16:17], v[38:39]
	v_fma_f64 v[48:49], v[50:51], s[10:11], v[44:45]
	s_delay_alu instid0(VALU_DEP_2) | instskip(SKIP_2) | instid1(VALU_DEP_2)
	v_fma_f64 v[44:45], v[50:51], s[10:11], v[34:35]
	v_add_f64 v[34:35], v[46:47], v[146:147]
	v_add_f64 v[50:51], v[146:147], -v[62:63]
	v_add_f64 v[34:35], v[34:35], v[62:63]
	s_delay_alu instid0(VALU_DEP_2) | instskip(NEXT) | instid1(VALU_DEP_2)
	v_add_f64 v[50:51], v[50:51], v[72:73]
	v_add_f64 v[34:35], v[34:35], v[74:75]
	s_delay_alu instid0(VALU_DEP_1) | instskip(SKIP_2) | instid1(VALU_DEP_2)
	v_add_f64 v[38:39], v[34:35], v[58:59]
	v_add_f64 v[34:35], v[62:63], v[74:75]
	v_add_f64 v[62:63], v[62:63], -v[146:147]
	v_fma_f64 v[34:35], v[34:35], -0.5, v[46:47]
	s_delay_alu instid0(VALU_DEP_1) | instskip(SKIP_1) | instid1(VALU_DEP_2)
	v_fma_f64 v[42:43], v[56:57], s[12:13], v[34:35]
	v_fma_f64 v[34:35], v[56:57], s[14:15], v[34:35]
	;; [unrolled: 1-line block ×3, first 2 shown]
	s_delay_alu instid0(VALU_DEP_2) | instskip(NEXT) | instid1(VALU_DEP_2)
	v_fma_f64 v[34:35], v[60:61], s[2:3], v[34:35]
	v_fma_f64 v[42:43], v[50:51], s[10:11], v[42:43]
	s_delay_alu instid0(VALU_DEP_2) | instskip(SKIP_3) | instid1(VALU_DEP_3)
	v_fma_f64 v[34:35], v[50:51], s[10:11], v[34:35]
	v_add_f64 v[50:51], v[146:147], v[58:59]
	v_add_f64 v[58:59], v[74:75], -v[58:59]
	v_add_f64 v[74:75], v[28:29], -v[252:253]
	v_fma_f64 v[46:47], v[50:51], -0.5, v[46:47]
	s_delay_alu instid0(VALU_DEP_3) | instskip(SKIP_1) | instid1(VALU_DEP_4)
	v_add_f64 v[58:59], v[62:63], v[58:59]
	v_add_f64 v[62:63], v[254:255], -v[22:23]
	v_add_f64 v[74:75], v[74:75], v[76:77]
	v_add_f64 v[76:77], v[20:21], -v[24:25]
	v_fma_f64 v[50:51], v[60:61], s[14:15], v[46:47]
	v_fma_f64 v[46:47], v[60:61], s[12:13], v[46:47]
	s_delay_alu instid0(VALU_DEP_2) | instskip(NEXT) | instid1(VALU_DEP_2)
	v_fma_f64 v[50:51], v[56:57], s[16:17], v[50:51]
	v_fma_f64 v[46:47], v[56:57], s[2:3], v[46:47]
	v_add_f64 v[56:57], v[52:53], v[28:29]
	s_delay_alu instid0(VALU_DEP_3) | instskip(NEXT) | instid1(VALU_DEP_3)
	v_fma_f64 v[50:51], v[58:59], s[10:11], v[50:51]
	v_fma_f64 v[46:47], v[58:59], s[10:11], v[46:47]
	s_delay_alu instid0(VALU_DEP_3) | instskip(SKIP_1) | instid1(VALU_DEP_2)
	v_add_f64 v[56:57], v[56:57], v[252:253]
	v_add_f64 v[58:59], v[30:31], -v[26:27]
	v_add_f64 v[56:57], v[56:57], v[20:21]
	s_delay_alu instid0(VALU_DEP_1) | instskip(SKIP_2) | instid1(VALU_DEP_2)
	v_add_f64 v[72:73], v[56:57], v[24:25]
	v_add_f64 v[56:57], v[252:253], v[20:21]
	v_add_f64 v[20:21], v[252:253], -v[20:21]
	v_fma_f64 v[56:57], v[56:57], -0.5, v[52:53]
	s_delay_alu instid0(VALU_DEP_1) | instskip(SKIP_1) | instid1(VALU_DEP_2)
	v_fma_f64 v[60:61], v[58:59], s[14:15], v[56:57]
	v_fma_f64 v[56:57], v[58:59], s[12:13], v[56:57]
	;; [unrolled: 1-line block ×3, first 2 shown]
	s_delay_alu instid0(VALU_DEP_2) | instskip(NEXT) | instid1(VALU_DEP_2)
	v_fma_f64 v[56:57], v[62:63], s[16:17], v[56:57]
	v_fma_f64 v[144:145], v[74:75], s[10:11], v[60:61]
	v_add_f64 v[60:61], v[28:29], v[24:25]
	s_delay_alu instid0(VALU_DEP_3) | instskip(SKIP_2) | instid1(VALU_DEP_4)
	v_fma_f64 v[56:57], v[74:75], s[10:11], v[56:57]
	v_add_f64 v[74:75], v[252:253], -v[28:29]
	v_add_f64 v[24:25], v[28:29], -v[24:25]
	v_fma_f64 v[52:53], v[60:61], -0.5, v[52:53]
	s_delay_alu instid0(VALU_DEP_3) | instskip(SKIP_1) | instid1(VALU_DEP_3)
	v_add_f64 v[74:75], v[74:75], v[76:77]
	v_add_f64 v[76:77], v[26:27], -v[22:23]
	v_fma_f64 v[60:61], v[62:63], s[12:13], v[52:53]
	v_fma_f64 v[52:53], v[62:63], s[14:15], v[52:53]
	v_add_f64 v[62:63], v[30:31], -v[254:255]
	s_delay_alu instid0(VALU_DEP_3) | instskip(NEXT) | instid1(VALU_DEP_3)
	v_fma_f64 v[60:61], v[58:59], s[2:3], v[60:61]
	v_fma_f64 v[52:53], v[58:59], s[16:17], v[52:53]
	v_add_f64 v[58:59], v[54:55], v[30:31]
	s_delay_alu instid0(VALU_DEP_4) | instskip(SKIP_4) | instid1(VALU_DEP_4)
	v_add_f64 v[62:63], v[62:63], v[76:77]
	v_add_f64 v[76:77], v[244:245], -v[240:241]
	v_fma_f64 v[60:61], v[74:75], s[10:11], v[60:61]
	v_fma_f64 v[52:53], v[74:75], s[10:11], v[52:53]
	v_add_f64 v[58:59], v[58:59], v[254:255]
	v_add_f64 v[76:77], v[76:77], v[78:79]
	v_add_f64 v[78:79], v[242:243], -v[246:247]
	s_delay_alu instid0(VALU_DEP_3) | instskip(NEXT) | instid1(VALU_DEP_1)
	v_add_f64 v[58:59], v[58:59], v[22:23]
	v_add_f64 v[74:75], v[58:59], v[26:27]
	;; [unrolled: 1-line block ×3, first 2 shown]
	v_add_f64 v[22:23], v[22:23], -v[26:27]
	s_delay_alu instid0(VALU_DEP_2) | instskip(NEXT) | instid1(VALU_DEP_1)
	v_fma_f64 v[58:59], v[58:59], -0.5, v[54:55]
	v_fma_f64 v[28:29], v[24:25], s[12:13], v[58:59]
	s_delay_alu instid0(VALU_DEP_1) | instskip(NEXT) | instid1(VALU_DEP_1)
	v_fma_f64 v[28:29], v[20:21], s[16:17], v[28:29]
	v_fma_f64 v[146:147], v[62:63], s[10:11], v[28:29]
	;; [unrolled: 1-line block ×3, first 2 shown]
	s_delay_alu instid0(VALU_DEP_1) | instskip(NEXT) | instid1(VALU_DEP_1)
	v_fma_f64 v[28:29], v[20:21], s[2:3], v[28:29]
	v_fma_f64 v[58:59], v[62:63], s[10:11], v[28:29]
	v_add_f64 v[28:29], v[30:31], v[26:27]
	v_add_f64 v[30:31], v[254:255], -v[30:31]
	v_add_f64 v[26:27], v[242:243], -v[234:235]
	s_delay_alu instid0(VALU_DEP_3) | instskip(NEXT) | instid1(VALU_DEP_3)
	v_fma_f64 v[28:29], v[28:29], -0.5, v[54:55]
	v_add_f64 v[22:23], v[30:31], v[22:23]
	v_add_f64 v[30:31], v[232:233], -v[236:237]
	s_delay_alu instid0(VALU_DEP_3) | instskip(SKIP_2) | instid1(VALU_DEP_3)
	v_fma_f64 v[54:55], v[20:21], s[14:15], v[28:29]
	v_fma_f64 v[20:21], v[20:21], s[12:13], v[28:29]
	v_add_f64 v[28:29], v[246:247], -v[238:239]
	v_fma_f64 v[54:55], v[24:25], s[16:17], v[54:55]
	s_delay_alu instid0(VALU_DEP_3) | instskip(SKIP_1) | instid1(VALU_DEP_3)
	v_fma_f64 v[20:21], v[24:25], s[2:3], v[20:21]
	v_add_f64 v[24:25], v[240:241], -v[244:245]
	v_fma_f64 v[62:63], v[22:23], s[10:11], v[54:55]
	s_delay_alu instid0(VALU_DEP_3) | instskip(SKIP_1) | instid1(VALU_DEP_4)
	v_fma_f64 v[54:55], v[22:23], s[10:11], v[20:21]
	v_add_f64 v[20:21], v[248:249], v[240:241]
	v_add_f64 v[24:25], v[24:25], v[30:31]
	s_delay_alu instid0(VALU_DEP_2) | instskip(NEXT) | instid1(VALU_DEP_1)
	v_add_f64 v[20:21], v[20:21], v[244:245]
	v_add_f64 v[20:21], v[20:21], v[236:237]
	s_delay_alu instid0(VALU_DEP_1) | instskip(SKIP_1) | instid1(VALU_DEP_1)
	v_add_f64 v[252:253], v[20:21], v[232:233]
	v_add_f64 v[20:21], v[244:245], v[236:237]
	v_fma_f64 v[22:23], v[20:21], -0.5, v[248:249]
	s_delay_alu instid0(VALU_DEP_1) | instskip(SKIP_1) | instid1(VALU_DEP_2)
	v_fma_f64 v[20:21], v[26:27], s[14:15], v[22:23]
	v_fma_f64 v[22:23], v[26:27], s[12:13], v[22:23]
	v_fma_f64 v[20:21], v[28:29], s[2:3], v[20:21]
	s_delay_alu instid0(VALU_DEP_2) | instskip(NEXT) | instid1(VALU_DEP_2)
	v_fma_f64 v[22:23], v[28:29], s[16:17], v[22:23]
	v_fma_f64 v[20:21], v[24:25], s[10:11], v[20:21]
	s_delay_alu instid0(VALU_DEP_2) | instskip(SKIP_1) | instid1(VALU_DEP_1)
	v_fma_f64 v[24:25], v[24:25], s[10:11], v[22:23]
	v_add_f64 v[22:23], v[240:241], v[232:233]
	v_fma_f64 v[22:23], v[22:23], -0.5, v[248:249]
	s_delay_alu instid0(VALU_DEP_1) | instskip(SKIP_1) | instid1(VALU_DEP_2)
	v_fma_f64 v[30:31], v[28:29], s[12:13], v[22:23]
	v_fma_f64 v[22:23], v[28:29], s[14:15], v[22:23]
	;; [unrolled: 1-line block ×3, first 2 shown]
	s_delay_alu instid0(VALU_DEP_2) | instskip(NEXT) | instid1(VALU_DEP_2)
	v_fma_f64 v[22:23], v[26:27], s[16:17], v[22:23]
	v_fma_f64 v[248:249], v[76:77], s[10:11], v[30:31]
	s_delay_alu instid0(VALU_DEP_2)
	v_fma_f64 v[28:29], v[76:77], s[10:11], v[22:23]
	v_add_f64 v[22:23], v[250:251], v[242:243]
	v_add_f64 v[30:31], v[240:241], -v[232:233]
	v_add_f64 v[76:77], v[244:245], -v[236:237]
	;; [unrolled: 1-line block ×4, first 2 shown]
	v_add_f64 v[22:23], v[22:23], v[246:247]
	s_delay_alu instid0(VALU_DEP_3) | instskip(NEXT) | instid1(VALU_DEP_2)
	v_add_f64 v[78:79], v[78:79], v[232:233]
	v_add_f64 v[22:23], v[22:23], v[238:239]
	s_delay_alu instid0(VALU_DEP_1) | instskip(SKIP_1) | instid1(VALU_DEP_1)
	v_add_f64 v[254:255], v[22:23], v[234:235]
	v_add_f64 v[22:23], v[246:247], v[238:239]
	v_fma_f64 v[26:27], v[22:23], -0.5, v[250:251]
	s_delay_alu instid0(VALU_DEP_1) | instskip(SKIP_1) | instid1(VALU_DEP_2)
	v_fma_f64 v[22:23], v[30:31], s[12:13], v[26:27]
	v_fma_f64 v[26:27], v[30:31], s[14:15], v[26:27]
	;; [unrolled: 1-line block ×3, first 2 shown]
	s_delay_alu instid0(VALU_DEP_2) | instskip(NEXT) | instid1(VALU_DEP_2)
	v_fma_f64 v[26:27], v[76:77], s[2:3], v[26:27]
	v_fma_f64 v[22:23], v[78:79], s[10:11], v[22:23]
	s_delay_alu instid0(VALU_DEP_2) | instskip(SKIP_2) | instid1(VALU_DEP_2)
	v_fma_f64 v[26:27], v[78:79], s[10:11], v[26:27]
	v_add_f64 v[78:79], v[242:243], v[234:235]
	v_add_f64 v[234:235], v[238:239], -v[234:235]
	v_fma_f64 v[78:79], v[78:79], -0.5, v[250:251]
	s_delay_alu instid0(VALU_DEP_2) | instskip(NEXT) | instid1(VALU_DEP_2)
	v_add_f64 v[234:235], v[236:237], v[234:235]
	v_fma_f64 v[232:233], v[76:77], s[14:15], v[78:79]
	v_fma_f64 v[76:77], v[76:77], s[12:13], v[78:79]
	s_delay_alu instid0(VALU_DEP_2) | instskip(NEXT) | instid1(VALU_DEP_2)
	v_fma_f64 v[232:233], v[30:31], s[16:17], v[232:233]
	v_fma_f64 v[30:31], v[30:31], s[2:3], v[76:77]
	scratch_load_b32 v76, off, off offset:340 ; 4-byte Folded Reload
	s_waitcnt vmcnt(0)
	ds_store_b128 v76, v[4:7]
	ds_store_b128 v76, v[8:11] offset:16
	ds_store_b128 v76, v[16:19] offset:32
	;; [unrolled: 1-line block ×4, first 2 shown]
	scratch_load_b32 v0, off, off offset:344 ; 4-byte Folded Reload
	v_fma_f64 v[250:251], v[234:235], s[10:11], v[232:233]
	v_fma_f64 v[30:31], v[234:235], s[10:11], v[30:31]
	s_waitcnt vmcnt(0)
	ds_store_b128 v0, v[36:39]
	ds_store_b128 v0, v[40:43] offset:16
	ds_store_b128 v0, v[48:51] offset:32
	ds_store_b128 v0, v[44:47] offset:48
	ds_store_b128 v0, v[32:35] offset:64
	scratch_load_b32 v0, off, off offset:288 ; 4-byte Folded Reload
	s_waitcnt vmcnt(0)
	ds_store_b128 v0, v[72:75]
	ds_store_b128 v0, v[144:147] offset:16
	ds_store_b128 v0, v[60:63] offset:32
	;; [unrolled: 1-line block ×4, first 2 shown]
	s_and_saveexec_b32 s1, vcc_lo
	s_cbranch_execz .LBB0_21
; %bb.20:
	s_clause 0x1
	scratch_load_b32 v0, off, off offset:12
	scratch_load_b32 v1, off, off offset:368
	s_waitcnt vmcnt(0)
	v_lshl_add_u32 v0, v1, 4, v0
	ds_store_b128 v0, v[252:255]
	ds_store_b128 v0, v[20:23] offset:16
	ds_store_b128 v0, v[248:251] offset:32
	;; [unrolled: 1-line block ×4, first 2 shown]
.LBB0_21:
	s_or_b32 exec_lo, exec_lo, s1
	s_waitcnt lgkmcnt(0)
	s_barrier
	buffer_gl0_inv
	ds_load_b128 v[0:3], v82
	ds_load_b128 v[236:239], v82 offset:1200
	ds_load_b128 v[52:55], v82 offset:7680
	;; [unrolled: 1-line block ×14, first 2 shown]
	s_and_saveexec_b32 s1, vcc_lo
	s_cbranch_execz .LBB0_23
; %bb.22:
	ds_load_b128 v[252:255], v82 offset:3600
	ds_load_b128 v[20:23], v82 offset:7440
	ds_load_b128 v[248:251], v82 offset:11280
	ds_load_b128 v[28:31], v82 offset:15120
	ds_load_b128 v[24:27], v82 offset:18960
.LBB0_23:
	s_or_b32 exec_lo, exec_lo, s1
	s_waitcnt lgkmcnt(8)
	v_mul_f64 v[72:73], v[174:175], v[62:63]
	s_mov_b32 s11, 0x3fee6f0e
	s_mov_b32 s10, s14
	;; [unrolled: 1-line block ×8, first 2 shown]
	s_waitcnt lgkmcnt(0)
	s_barrier
	buffer_gl0_inv
	v_fma_f64 v[76:77], v[172:173], v[60:61], v[72:73]
	v_mul_f64 v[60:61], v[174:175], v[60:61]
	s_delay_alu instid0(VALU_DEP_1) | instskip(SKIP_1) | instid1(VALU_DEP_1)
	v_fma_f64 v[78:79], v[172:173], v[62:63], -v[60:61]
	v_mul_f64 v[60:61], v[150:151], v[54:55]
	v_fma_f64 v[144:145], v[148:149], v[52:53], v[60:61]
	v_mul_f64 v[52:53], v[150:151], v[52:53]
	s_delay_alu instid0(VALU_DEP_1) | instskip(SKIP_1) | instid1(VALU_DEP_1)
	v_fma_f64 v[146:147], v[148:149], v[54:55], -v[52:53]
	v_mul_f64 v[52:53], v[138:139], v[58:59]
	v_fma_f64 v[148:149], v[136:137], v[56:57], v[52:53]
	v_mul_f64 v[52:53], v[138:139], v[56:57]
	s_delay_alu instid0(VALU_DEP_1) | instskip(SKIP_1) | instid1(VALU_DEP_1)
	v_fma_f64 v[136:137], v[136:137], v[58:59], -v[52:53]
	v_mul_f64 v[52:53], v[134:135], v[50:51]
	v_fma_f64 v[138:139], v[132:133], v[48:49], v[52:53]
	v_mul_f64 v[48:49], v[134:135], v[48:49]
	s_delay_alu instid0(VALU_DEP_1) | instskip(SKIP_1) | instid1(VALU_DEP_1)
	v_fma_f64 v[134:135], v[132:133], v[50:51], -v[48:49]
	v_mul_f64 v[48:49], v[142:143], v[46:47]
	v_fma_f64 v[54:55], v[140:141], v[44:45], v[48:49]
	v_mul_f64 v[44:45], v[142:143], v[44:45]
	s_delay_alu instid0(VALU_DEP_1) | instskip(SKIP_2) | instid1(VALU_DEP_2)
	v_fma_f64 v[56:57], v[140:141], v[46:47], -v[44:45]
	v_mul_f64 v[44:45], v[170:171], v[38:39]
	v_add_f64 v[140:141], v[76:77], -v[138:139]
	v_fma_f64 v[58:59], v[168:169], v[36:37], v[44:45]
	v_mul_f64 v[36:37], v[170:171], v[36:37]
	s_delay_alu instid0(VALU_DEP_1) | instskip(SKIP_1) | instid1(VALU_DEP_1)
	v_fma_f64 v[60:61], v[168:169], v[38:39], -v[36:37]
	v_mul_f64 v[36:37], v[166:167], v[42:43]
	v_fma_f64 v[62:63], v[164:165], v[40:41], v[36:37]
	v_mul_f64 v[36:37], v[166:167], v[40:41]
	s_delay_alu instid0(VALU_DEP_1) | instskip(SKIP_1) | instid1(VALU_DEP_1)
	v_fma_f64 v[72:73], v[164:165], v[42:43], -v[36:37]
	v_mul_f64 v[36:37], v[162:163], v[34:35]
	;; [unrolled: 5-line block ×6, first 2 shown]
	v_fma_f64 v[50:51], v[176:177], v[4:5], v[8:9]
	v_mul_f64 v[4:5], v[178:179], v[4:5]
	s_delay_alu instid0(VALU_DEP_1) | instskip(SKIP_2) | instid1(VALU_DEP_2)
	v_fma_f64 v[52:53], v[176:177], v[6:7], -v[4:5]
	v_mul_f64 v[4:5], v[206:207], v[22:23]
	v_add_f64 v[6:7], v[148:149], -v[138:139]
	v_fma_f64 v[32:33], v[204:205], v[20:21], v[4:5]
	v_mul_f64 v[4:5], v[206:207], v[20:21]
	s_delay_alu instid0(VALU_DEP_1) | instskip(SKIP_1) | instid1(VALU_DEP_1)
	v_fma_f64 v[36:37], v[204:205], v[22:23], -v[4:5]
	v_mul_f64 v[4:5], v[202:203], v[250:251]
	v_fma_f64 v[20:21], v[200:201], v[248:249], v[4:5]
	v_mul_f64 v[4:5], v[202:203], v[248:249]
	s_delay_alu instid0(VALU_DEP_1) | instskip(SKIP_1) | instid1(VALU_DEP_1)
	v_fma_f64 v[34:35], v[200:201], v[250:251], -v[4:5]
	v_mul_f64 v[4:5], v[198:199], v[30:31]
	v_fma_f64 v[16:17], v[196:197], v[28:29], v[4:5]
	v_mul_f64 v[4:5], v[198:199], v[28:29]
	v_add_f64 v[28:29], v[78:79], -v[134:135]
	s_delay_alu instid0(VALU_DEP_2) | instskip(SKIP_2) | instid1(VALU_DEP_2)
	v_fma_f64 v[22:23], v[196:197], v[30:31], -v[4:5]
	v_mul_f64 v[4:5], v[194:195], v[26:27]
	v_add_f64 v[30:31], v[144:145], -v[148:149]
	v_fma_f64 v[18:19], v[192:193], v[24:25], v[4:5]
	v_mul_f64 v[4:5], v[194:195], v[24:25]
	s_delay_alu instid0(VALU_DEP_1) | instskip(SKIP_2) | instid1(VALU_DEP_2)
	v_fma_f64 v[24:25], v[192:193], v[26:27], -v[4:5]
	v_add_f64 v[4:5], v[144:145], -v[76:77]
	v_add_f64 v[26:27], v[146:147], -v[136:137]
	v_add_f64 v[8:9], v[4:5], v[6:7]
	v_add_f64 v[4:5], v[146:147], -v[78:79]
	v_add_f64 v[6:7], v[136:137], -v[134:135]
	s_delay_alu instid0(VALU_DEP_1) | instskip(SKIP_1) | instid1(VALU_DEP_1)
	v_add_f64 v[10:11], v[4:5], v[6:7]
	v_add_f64 v[4:5], v[76:77], v[138:139]
	v_fma_f64 v[12:13], v[4:5], -0.5, v[0:1]
	v_add_f64 v[4:5], v[78:79], v[134:135]
	s_delay_alu instid0(VALU_DEP_1) | instskip(NEXT) | instid1(VALU_DEP_3)
	v_fma_f64 v[14:15], v[4:5], -0.5, v[2:3]
	v_fma_f64 v[4:5], v[26:27], s[10:11], v[12:13]
	v_fma_f64 v[12:13], v[26:27], s[14:15], v[12:13]
	s_delay_alu instid0(VALU_DEP_3) | instskip(NEXT) | instid1(VALU_DEP_3)
	v_fma_f64 v[6:7], v[30:31], s[14:15], v[14:15]
	v_fma_f64 v[4:5], v[28:29], s[16:17], v[4:5]
	s_delay_alu instid0(VALU_DEP_3) | instskip(SKIP_1) | instid1(VALU_DEP_4)
	v_fma_f64 v[12:13], v[28:29], s[2:3], v[12:13]
	v_fma_f64 v[14:15], v[30:31], s[10:11], v[14:15]
	;; [unrolled: 1-line block ×3, first 2 shown]
	s_delay_alu instid0(VALU_DEP_4) | instskip(NEXT) | instid1(VALU_DEP_4)
	v_fma_f64 v[4:5], v[8:9], s[12:13], v[4:5]
	v_fma_f64 v[8:9], v[8:9], s[12:13], v[12:13]
	v_add_f64 v[12:13], v[144:145], v[148:149]
	v_fma_f64 v[14:15], v[140:141], s[16:17], v[14:15]
	v_fma_f64 v[6:7], v[10:11], s[12:13], v[6:7]
	s_delay_alu instid0(VALU_DEP_3) | instskip(SKIP_4) | instid1(VALU_DEP_4)
	v_fma_f64 v[142:143], v[12:13], -0.5, v[0:1]
	v_add_f64 v[12:13], v[146:147], v[136:137]
	v_add_f64 v[0:1], v[0:1], v[76:77]
	v_fma_f64 v[10:11], v[10:11], s[12:13], v[14:15]
	v_add_f64 v[76:77], v[76:77], -v[144:145]
	v_fma_f64 v[150:151], v[12:13], -0.5, v[2:3]
	v_add_f64 v[2:3], v[2:3], v[78:79]
	v_add_f64 v[0:1], v[0:1], v[144:145]
	v_add_f64 v[78:79], v[78:79], -v[146:147]
	v_add_f64 v[144:145], v[138:139], -v[148:149]
	s_delay_alu instid0(VALU_DEP_4) | instskip(NEXT) | instid1(VALU_DEP_4)
	v_add_f64 v[2:3], v[2:3], v[146:147]
	v_add_f64 v[0:1], v[0:1], v[148:149]
	s_delay_alu instid0(VALU_DEP_3) | instskip(NEXT) | instid1(VALU_DEP_3)
	v_add_f64 v[76:77], v[76:77], v[144:145]
	v_add_f64 v[2:3], v[2:3], v[136:137]
	s_delay_alu instid0(VALU_DEP_3) | instskip(SKIP_2) | instid1(VALU_DEP_4)
	v_add_f64 v[12:13], v[0:1], v[138:139]
	v_add_f64 v[0:1], v[134:135], -v[136:137]
	v_fma_f64 v[136:137], v[140:141], s[14:15], v[150:151]
	v_add_f64 v[14:15], v[2:3], v[134:135]
	v_fma_f64 v[2:3], v[28:29], s[14:15], v[142:143]
	v_fma_f64 v[28:29], v[28:29], s[10:11], v[142:143]
	;; [unrolled: 1-line block ×3, first 2 shown]
	v_add_f64 v[78:79], v[78:79], v[0:1]
	s_delay_alu instid0(VALU_DEP_4) | instskip(NEXT) | instid1(VALU_DEP_4)
	v_fma_f64 v[0:1], v[26:27], s[16:17], v[2:3]
	v_fma_f64 v[2:3], v[26:27], s[2:3], v[28:29]
	s_delay_alu instid0(VALU_DEP_4) | instskip(SKIP_1) | instid1(VALU_DEP_4)
	v_fma_f64 v[28:29], v[30:31], s[2:3], v[134:135]
	v_fma_f64 v[30:31], v[30:31], s[16:17], v[136:137]
	;; [unrolled: 1-line block ×3, first 2 shown]
	s_delay_alu instid0(VALU_DEP_4) | instskip(NEXT) | instid1(VALU_DEP_4)
	v_fma_f64 v[0:1], v[76:77], s[12:13], v[2:3]
	v_fma_f64 v[28:29], v[78:79], s[12:13], v[28:29]
	s_delay_alu instid0(VALU_DEP_4)
	v_fma_f64 v[2:3], v[78:79], s[12:13], v[30:31]
	ds_store_b128 v71, v[12:15]
	ds_store_b128 v71, v[26:29] offset:80
	ds_store_b128 v71, v[4:7] offset:160
	;; [unrolled: 1-line block ×4, first 2 shown]
	v_add_f64 v[0:1], v[58:59], -v[54:55]
	v_add_f64 v[2:3], v[62:63], -v[74:75]
	;; [unrolled: 1-line block ×6, first 2 shown]
	v_add_f64 v[4:5], v[0:1], v[2:3]
	v_add_f64 v[0:1], v[60:61], -v[56:57]
	v_add_f64 v[2:3], v[72:73], -v[132:133]
	s_delay_alu instid0(VALU_DEP_1) | instskip(SKIP_1) | instid1(VALU_DEP_1)
	v_add_f64 v[6:7], v[0:1], v[2:3]
	v_add_f64 v[0:1], v[54:55], v[74:75]
	v_fma_f64 v[8:9], v[0:1], -0.5, v[236:237]
	v_add_f64 v[0:1], v[56:57], v[132:133]
	s_delay_alu instid0(VALU_DEP_1) | instskip(NEXT) | instid1(VALU_DEP_3)
	v_fma_f64 v[10:11], v[0:1], -0.5, v[238:239]
	v_fma_f64 v[0:1], v[12:13], s[10:11], v[8:9]
	v_fma_f64 v[8:9], v[12:13], s[14:15], v[8:9]
	s_delay_alu instid0(VALU_DEP_3) | instskip(NEXT) | instid1(VALU_DEP_3)
	v_fma_f64 v[2:3], v[26:27], s[14:15], v[10:11]
	v_fma_f64 v[0:1], v[14:15], s[16:17], v[0:1]
	s_delay_alu instid0(VALU_DEP_3) | instskip(SKIP_1) | instid1(VALU_DEP_4)
	v_fma_f64 v[8:9], v[14:15], s[2:3], v[8:9]
	v_fma_f64 v[10:11], v[26:27], s[10:11], v[10:11]
	v_fma_f64 v[2:3], v[28:29], s[2:3], v[2:3]
	s_delay_alu instid0(VALU_DEP_4) | instskip(NEXT) | instid1(VALU_DEP_4)
	v_fma_f64 v[0:1], v[4:5], s[12:13], v[0:1]
	v_fma_f64 v[4:5], v[4:5], s[12:13], v[8:9]
	v_add_f64 v[8:9], v[58:59], v[62:63]
	v_fma_f64 v[10:11], v[28:29], s[16:17], v[10:11]
	v_fma_f64 v[2:3], v[6:7], s[12:13], v[2:3]
	s_delay_alu instid0(VALU_DEP_3) | instskip(SKIP_1) | instid1(VALU_DEP_4)
	v_fma_f64 v[30:31], v[8:9], -0.5, v[236:237]
	v_add_f64 v[8:9], v[60:61], v[72:73]
	v_fma_f64 v[6:7], v[6:7], s[12:13], v[10:11]
	v_add_f64 v[10:11], v[238:239], v[56:57]
	v_add_f64 v[56:57], v[56:57], -v[60:61]
	s_delay_alu instid0(VALU_DEP_4) | instskip(SKIP_1) | instid1(VALU_DEP_4)
	v_fma_f64 v[76:77], v[8:9], -0.5, v[238:239]
	v_add_f64 v[8:9], v[236:237], v[54:55]
	v_add_f64 v[10:11], v[10:11], v[60:61]
	v_add_f64 v[54:55], v[54:55], -v[58:59]
	v_add_f64 v[60:61], v[132:133], -v[72:73]
	s_delay_alu instid0(VALU_DEP_4) | instskip(SKIP_2) | instid1(VALU_DEP_4)
	v_add_f64 v[8:9], v[8:9], v[58:59]
	v_add_f64 v[58:59], v[74:75], -v[62:63]
	v_add_f64 v[10:11], v[10:11], v[72:73]
	v_add_f64 v[56:57], v[56:57], v[60:61]
	s_delay_alu instid0(VALU_DEP_4)
	v_add_f64 v[8:9], v[8:9], v[62:63]
	v_fma_f64 v[62:63], v[14:15], s[14:15], v[30:31]
	v_fma_f64 v[14:15], v[14:15], s[10:11], v[30:31]
	;; [unrolled: 1-line block ×4, first 2 shown]
	v_add_f64 v[54:55], v[54:55], v[58:59]
	v_add_f64 v[10:11], v[10:11], v[132:133]
	;; [unrolled: 1-line block ×3, first 2 shown]
	v_fma_f64 v[58:59], v[12:13], s[16:17], v[62:63]
	v_fma_f64 v[60:61], v[12:13], s[2:3], v[14:15]
	;; [unrolled: 1-line block ×4, first 2 shown]
	s_delay_alu instid0(VALU_DEP_4) | instskip(NEXT) | instid1(VALU_DEP_4)
	v_fma_f64 v[12:13], v[54:55], s[12:13], v[58:59]
	v_fma_f64 v[26:27], v[54:55], s[12:13], v[60:61]
	s_delay_alu instid0(VALU_DEP_4) | instskip(NEXT) | instid1(VALU_DEP_4)
	v_fma_f64 v[14:15], v[56:57], s[12:13], v[14:15]
	v_fma_f64 v[28:29], v[56:57], s[12:13], v[28:29]
	ds_store_b128 v70, v[8:11]
	ds_store_b128 v70, v[12:15] offset:80
	ds_store_b128 v70, v[0:3] offset:160
	;; [unrolled: 1-line block ×4, first 2 shown]
	v_add_f64 v[0:1], v[38:39], -v[42:43]
	v_add_f64 v[2:3], v[50:51], -v[46:47]
	v_add_f64 v[12:13], v[40:41], -v[52:53]
	v_add_f64 v[14:15], v[44:45], -v[48:49]
	v_add_f64 v[26:27], v[38:39], -v[50:51]
	v_add_f64 v[28:29], v[42:43], -v[46:47]
	v_add_f64 v[4:5], v[0:1], v[2:3]
	v_add_f64 v[0:1], v[40:41], -v[44:45]
	v_add_f64 v[2:3], v[52:53], -v[48:49]
	s_delay_alu instid0(VALU_DEP_1) | instskip(SKIP_1) | instid1(VALU_DEP_1)
	v_add_f64 v[6:7], v[0:1], v[2:3]
	v_add_f64 v[0:1], v[42:43], v[46:47]
	v_fma_f64 v[8:9], v[0:1], -0.5, v[232:233]
	v_add_f64 v[0:1], v[44:45], v[48:49]
	s_delay_alu instid0(VALU_DEP_1) | instskip(NEXT) | instid1(VALU_DEP_3)
	v_fma_f64 v[10:11], v[0:1], -0.5, v[234:235]
	v_fma_f64 v[0:1], v[12:13], s[14:15], v[8:9]
	v_fma_f64 v[8:9], v[12:13], s[10:11], v[8:9]
	s_delay_alu instid0(VALU_DEP_3) | instskip(NEXT) | instid1(VALU_DEP_3)
	v_fma_f64 v[2:3], v[26:27], s[10:11], v[10:11]
	v_fma_f64 v[0:1], v[14:15], s[16:17], v[0:1]
	s_delay_alu instid0(VALU_DEP_3) | instskip(SKIP_1) | instid1(VALU_DEP_4)
	v_fma_f64 v[8:9], v[14:15], s[2:3], v[8:9]
	v_fma_f64 v[10:11], v[26:27], s[14:15], v[10:11]
	;; [unrolled: 1-line block ×3, first 2 shown]
	s_delay_alu instid0(VALU_DEP_4) | instskip(NEXT) | instid1(VALU_DEP_4)
	v_fma_f64 v[0:1], v[4:5], s[12:13], v[0:1]
	v_fma_f64 v[4:5], v[4:5], s[12:13], v[8:9]
	v_add_f64 v[8:9], v[38:39], v[50:51]
	v_fma_f64 v[10:11], v[28:29], s[16:17], v[10:11]
	v_fma_f64 v[2:3], v[6:7], s[12:13], v[2:3]
	s_delay_alu instid0(VALU_DEP_3) | instskip(SKIP_1) | instid1(VALU_DEP_4)
	v_fma_f64 v[30:31], v[8:9], -0.5, v[232:233]
	v_add_f64 v[8:9], v[40:41], v[52:53]
	v_fma_f64 v[6:7], v[6:7], s[12:13], v[10:11]
	v_add_f64 v[10:11], v[234:235], v[40:41]
	v_add_f64 v[40:41], v[44:45], -v[40:41]
	s_delay_alu instid0(VALU_DEP_4) | instskip(SKIP_1) | instid1(VALU_DEP_4)
	v_fma_f64 v[54:55], v[8:9], -0.5, v[234:235]
	v_add_f64 v[8:9], v[232:233], v[38:39]
	v_add_f64 v[10:11], v[10:11], v[44:45]
	v_add_f64 v[38:39], v[42:43], -v[38:39]
	v_add_f64 v[44:45], v[48:49], -v[52:53]
	s_delay_alu instid0(VALU_DEP_4) | instskip(NEXT) | instid1(VALU_DEP_4)
	v_add_f64 v[8:9], v[8:9], v[42:43]
	v_add_f64 v[10:11], v[10:11], v[48:49]
	v_add_f64 v[42:43], v[46:47], -v[50:51]
	s_delay_alu instid0(VALU_DEP_4) | instskip(NEXT) | instid1(VALU_DEP_4)
	v_add_f64 v[40:41], v[40:41], v[44:45]
	v_add_f64 v[8:9], v[8:9], v[46:47]
	v_fma_f64 v[46:47], v[14:15], s[10:11], v[30:31]
	v_fma_f64 v[14:15], v[14:15], s[14:15], v[30:31]
	;; [unrolled: 1-line block ×3, first 2 shown]
	v_add_f64 v[10:11], v[10:11], v[52:53]
	v_fma_f64 v[28:29], v[28:29], s[10:11], v[54:55]
	v_add_f64 v[38:39], v[38:39], v[42:43]
	v_add_f64 v[8:9], v[8:9], v[50:51]
	v_fma_f64 v[42:43], v[12:13], s[16:17], v[46:47]
	v_fma_f64 v[44:45], v[12:13], s[2:3], v[14:15]
	;; [unrolled: 1-line block ×3, first 2 shown]
	ds_store_b128 v69, v[8:11]
	ds_store_b128 v69, v[0:3] offset:80
	v_fma_f64 v[28:29], v[26:27], s[16:17], v[28:29]
	v_fma_f64 v[12:13], v[38:39], s[12:13], v[42:43]
	;; [unrolled: 1-line block ×3, first 2 shown]
	v_add_f64 v[2:3], v[20:21], v[16:17]
	v_fma_f64 v[26:27], v[38:39], s[12:13], v[44:45]
	v_add_f64 v[0:1], v[36:37], -v[24:25]
	v_add_f64 v[8:9], v[32:33], -v[20:21]
	;; [unrolled: 1-line block ×3, first 2 shown]
	ds_store_b128 v69, v[4:7] offset:320
	v_add_f64 v[38:39], v[36:37], v[24:25]
	v_fma_f64 v[28:29], v[40:41], s[12:13], v[28:29]
	ds_store_b128 v69, v[12:15] offset:160
	v_add_f64 v[12:13], v[20:21], -v[32:33]
	v_add_f64 v[14:15], v[16:17], -v[18:19]
	v_fma_f64 v[2:3], v[2:3], -0.5, v[252:253]
	v_add_f64 v[4:5], v[8:9], v[10:11]
	v_fma_f64 v[38:39], v[38:39], -0.5, v[254:255]
	ds_store_b128 v69, v[26:29] offset:240
	v_add_f64 v[26:27], v[36:37], -v[34:35]
	v_add_f64 v[28:29], v[24:25], -v[22:23]
	v_add_f64 v[6:7], v[12:13], v[14:15]
	v_fma_f64 v[10:11], v[0:1], s[14:15], v[2:3]
	v_add_f64 v[12:13], v[34:35], -v[22:23]
	v_add_f64 v[14:15], v[34:35], v[22:23]
	v_add_f64 v[8:9], v[26:27], v[28:29]
	v_add_f64 v[26:27], v[32:33], -v[18:19]
	v_add_f64 v[28:29], v[20:21], -v[16:17]
	v_fma_f64 v[30:31], v[12:13], s[16:17], v[10:11]
	v_fma_f64 v[10:11], v[14:15], -0.5, v[254:255]
	s_delay_alu instid0(VALU_DEP_3) | instskip(NEXT) | instid1(VALU_DEP_3)
	v_fma_f64 v[42:43], v[28:29], s[14:15], v[38:39]
	v_fma_f64 v[132:133], v[4:5], s[12:13], v[30:31]
	s_delay_alu instid0(VALU_DEP_3) | instskip(SKIP_1) | instid1(VALU_DEP_4)
	v_fma_f64 v[14:15], v[26:27], s[10:11], v[10:11]
	v_add_f64 v[30:31], v[22:23], -v[24:25]
	v_fma_f64 v[42:43], v[26:27], s[2:3], v[42:43]
	s_delay_alu instid0(VALU_DEP_3) | instskip(NEXT) | instid1(VALU_DEP_1)
	v_fma_f64 v[14:15], v[28:29], s[2:3], v[14:15]
	v_fma_f64 v[134:135], v[8:9], s[12:13], v[14:15]
	v_add_f64 v[14:15], v[34:35], -v[36:37]
	s_delay_alu instid0(VALU_DEP_1) | instskip(SKIP_1) | instid1(VALU_DEP_2)
	v_add_f64 v[14:15], v[14:15], v[30:31]
	v_add_f64 v[30:31], v[32:33], v[18:19]
	v_fma_f64 v[138:139], v[14:15], s[12:13], v[42:43]
	s_delay_alu instid0(VALU_DEP_2) | instskip(NEXT) | instid1(VALU_DEP_1)
	v_fma_f64 v[30:31], v[30:31], -0.5, v[252:253]
	v_fma_f64 v[40:41], v[12:13], s[10:11], v[30:31]
	s_delay_alu instid0(VALU_DEP_1) | instskip(NEXT) | instid1(VALU_DEP_1)
	v_fma_f64 v[40:41], v[0:1], s[16:17], v[40:41]
	v_fma_f64 v[136:137], v[6:7], s[12:13], v[40:41]
	s_and_saveexec_b32 s1, vcc_lo
	s_cbranch_execz .LBB0_25
; %bb.24:
	v_mul_f64 v[42:43], v[26:27], s[10:11]
	v_mul_f64 v[46:47], v[0:1], s[10:11]
	v_add_f64 v[36:37], v[254:255], v[36:37]
	v_mul_f64 v[40:41], v[28:29], s[10:11]
	v_mul_f64 v[44:45], v[12:13], s[10:11]
	;; [unrolled: 1-line block ×5, first 2 shown]
	v_add_f64 v[32:33], v[252:253], v[32:33]
	v_mul_f64 v[0:1], v[0:1], s[2:3]
	v_mul_f64 v[26:27], v[26:27], s[2:3]
	v_add_f64 v[10:11], v[10:11], -v[42:43]
	v_add_f64 v[2:3], v[2:3], v[46:47]
	v_add_f64 v[34:35], v[36:37], v[34:35]
	v_mul_f64 v[36:37], v[4:5], s[12:13]
	v_add_f64 v[30:31], v[30:31], -v[44:45]
	v_mul_f64 v[4:5], v[6:7], s[12:13]
	v_mul_f64 v[6:7], v[14:15], s[12:13]
	v_add_f64 v[20:21], v[32:33], v[20:21]
	v_add_f64 v[32:33], v[40:41], v[38:39]
	v_add_f64 v[10:11], v[10:11], -v[28:29]
	v_add_f64 v[12:13], v[12:13], v[2:3]
	v_add_f64 v[14:15], v[34:35], v[22:23]
	;; [unrolled: 1-line block ×4, first 2 shown]
	v_add_f64 v[20:21], v[32:33], -v[26:27]
	v_add_f64 v[10:11], v[8:9], v[10:11]
	v_add_f64 v[8:9], v[36:37], v[12:13]
	s_clause 0x1
	scratch_load_b32 v12, off, off offset:348
	scratch_load_b32 v13, off, off offset:12
	v_add_f64 v[2:3], v[14:15], v[24:25]
	v_add_f64 v[4:5], v[4:5], v[22:23]
	v_add_f64 v[0:1], v[16:17], v[18:19]
	v_add_f64 v[6:7], v[6:7], v[20:21]
	s_waitcnt vmcnt(1)
	v_and_b32_e32 v12, 0xffff, v12
	s_waitcnt vmcnt(0)
	s_delay_alu instid0(VALU_DEP_1)
	v_lshl_add_u32 v12, v12, 4, v13
	ds_store_b128 v12, v[0:3]
	ds_store_b128 v12, v[132:135] offset:80
	ds_store_b128 v12, v[136:139] offset:160
	;; [unrolled: 1-line block ×4, first 2 shown]
.LBB0_25:
	s_or_b32 exec_lo, exec_lo, s1
	s_waitcnt lgkmcnt(0)
	s_barrier
	buffer_gl0_inv
	s_clause 0x2
	scratch_load_b128 v[6:9], off, off offset:324
	scratch_load_b128 v[10:13], off, off offset:308
	;; [unrolled: 1-line block ×3, first 2 shown]
	ds_load_b128 v[0:3], v82 offset:1200
	s_mov_b32 s2, 0x667f3bcd
	s_mov_b32 s3, 0xbfe6a09e
	;; [unrolled: 1-line block ×11, first 2 shown]
	s_waitcnt vmcnt(2) lgkmcnt(0)
	v_mul_f64 v[4:5], v[8:9], v[2:3]
	s_delay_alu instid0(VALU_DEP_1) | instskip(SKIP_1) | instid1(VALU_DEP_1)
	v_fma_f64 v[4:5], v[6:7], v[0:1], v[4:5]
	v_mul_f64 v[0:1], v[8:9], v[0:1]
	v_fma_f64 v[6:7], v[6:7], v[2:3], -v[0:1]
	ds_load_b128 v[0:3], v82 offset:2400
	s_waitcnt vmcnt(1) lgkmcnt(0)
	v_mul_f64 v[8:9], v[12:13], v[2:3]
	s_delay_alu instid0(VALU_DEP_1) | instskip(SKIP_1) | instid1(VALU_DEP_1)
	v_fma_f64 v[8:9], v[10:11], v[0:1], v[8:9]
	v_mul_f64 v[0:1], v[12:13], v[0:1]
	v_fma_f64 v[10:11], v[10:11], v[2:3], -v[0:1]
	ds_load_b128 v[0:3], v82 offset:3600
	;; [unrolled: 7-line block ×3, first 2 shown]
	s_waitcnt lgkmcnt(0)
	v_mul_f64 v[16:17], v[86:87], v[2:3]
	s_delay_alu instid0(VALU_DEP_1) | instskip(SKIP_1) | instid1(VALU_DEP_1)
	v_fma_f64 v[16:17], v[84:85], v[0:1], v[16:17]
	v_mul_f64 v[0:1], v[86:87], v[0:1]
	v_fma_f64 v[18:19], v[84:85], v[2:3], -v[0:1]
	ds_load_b128 v[0:3], v82 offset:6000
	s_waitcnt lgkmcnt(0)
	v_mul_f64 v[20:21], v[90:91], v[2:3]
	s_delay_alu instid0(VALU_DEP_1) | instskip(SKIP_1) | instid1(VALU_DEP_1)
	v_fma_f64 v[20:21], v[88:89], v[0:1], v[20:21]
	v_mul_f64 v[0:1], v[90:91], v[0:1]
	v_fma_f64 v[22:23], v[88:89], v[2:3], -v[0:1]
	ds_load_b128 v[0:3], v82 offset:7200
	;; [unrolled: 7-line block ×11, first 2 shown]
	s_waitcnt lgkmcnt(0)
	v_mul_f64 v[60:61], v[130:131], v[0:1]
	s_delay_alu instid0(VALU_DEP_1) | instskip(SKIP_1) | instid1(VALU_DEP_1)
	v_fma_f64 v[60:61], v[128:129], v[2:3], -v[60:61]
	v_mul_f64 v[2:3], v[130:131], v[2:3]
	v_fma_f64 v[62:63], v[128:129], v[0:1], v[2:3]
	ds_load_b128 v[0:3], v82
	s_waitcnt lgkmcnt(0)
	s_barrier
	buffer_gl0_inv
	v_add_f64 v[32:33], v[0:1], -v[32:33]
	v_add_f64 v[34:35], v[2:3], -v[34:35]
	s_delay_alu instid0(VALU_DEP_2) | instskip(NEXT) | instid1(VALU_DEP_2)
	v_fma_f64 v[69:70], v[0:1], 2.0, -v[32:33]
	v_fma_f64 v[71:72], v[2:3], 2.0, -v[34:35]
	v_add_f64 v[0:1], v[16:17], -v[36:37]
	v_add_f64 v[2:3], v[18:19], -v[38:39]
	;; [unrolled: 1-line block ×14, first 2 shown]
	v_fma_f64 v[16:17], v[16:17], 2.0, -v[0:1]
	v_fma_f64 v[18:19], v[18:19], 2.0, -v[2:3]
	;; [unrolled: 1-line block ×14, first 2 shown]
	v_add_f64 v[94:95], v[32:33], v[2:3]
	v_add_f64 v[42:43], v[36:37], v[42:43]
	v_add_f64 v[96:97], v[34:35], -v[0:1]
	v_add_f64 v[40:41], v[38:39], -v[40:41]
	v_add_f64 v[50:51], v[44:45], v[50:51]
	v_add_f64 v[56:57], v[52:53], v[56:57]
	v_add_f64 v[48:49], v[46:47], -v[48:49]
	v_add_f64 v[58:59], v[54:55], -v[58:59]
	;; [unrolled: 1-line block ×10, first 2 shown]
	v_fma_f64 v[0:1], v[42:43], s[10:11], v[94:95]
	v_add_f64 v[18:19], v[30:31], -v[73:74]
	v_add_f64 v[16:17], v[28:29], v[75:76]
	v_add_f64 v[8:9], v[77:78], v[86:87]
	v_add_f64 v[10:11], v[84:85], -v[88:89]
	v_fma_f64 v[22:23], v[22:23], 2.0, -v[86:87]
	v_fma_f64 v[20:21], v[20:21], 2.0, -v[88:89]
	v_fma_f64 v[98:99], v[40:41], s[10:11], v[0:1]
	v_fma_f64 v[0:1], v[40:41], s[10:11], v[96:97]
	v_fma_f64 v[92:93], v[30:31], 2.0, -v[18:19]
	v_fma_f64 v[90:91], v[28:29], 2.0, -v[16:17]
	;; [unrolled: 1-line block ×4, first 2 shown]
	v_fma_f64 v[4:5], v[8:9], s[10:11], v[16:17]
	v_fma_f64 v[6:7], v[10:11], s[10:11], v[18:19]
	v_fma_f64 v[12:13], v[77:78], 2.0, -v[8:9]
	v_fma_f64 v[104:105], v[94:95], 2.0, -v[98:99]
	v_fma_f64 v[100:101], v[42:43], s[2:3], v[0:1]
	v_fma_f64 v[0:1], v[56:57], s[10:11], v[50:51]
	v_fma_f64 v[4:5], v[10:11], s[10:11], v[4:5]
	v_fma_f64 v[6:7], v[8:9], s[2:3], v[6:7]
	v_fma_f64 v[8:9], v[84:85], 2.0, -v[10:11]
	v_fma_f64 v[10:11], v[12:13], s[2:3], v[90:91]
	v_fma_f64 v[106:107], v[96:97], 2.0, -v[100:101]
	v_fma_f64 v[16:17], v[16:17], 2.0, -v[4:5]
	;; [unrolled: 1-line block ×3, first 2 shown]
	ds_store_b128 v68, v[4:7] offset:5600
	v_fma_f64 v[4:5], v[60:61], 2.0, -v[73:74]
	v_fma_f64 v[6:7], v[62:63], 2.0, -v[75:76]
	;; [unrolled: 1-line block ×4, first 2 shown]
	v_fma_f64 v[14:15], v[8:9], s[2:3], v[92:93]
	v_fma_f64 v[24:25], v[32:33], 2.0, -v[94:95]
	v_fma_f64 v[26:27], v[34:35], 2.0, -v[96:97]
	;; [unrolled: 1-line block ×6, first 2 shown]
	v_fma_f64 v[8:9], v[8:9], s[10:11], v[10:11]
	v_add_f64 v[69:70], v[28:29], -v[4:5]
	v_add_f64 v[71:72], v[30:31], -v[6:7]
	;; [unrolled: 1-line block ×4, first 2 shown]
	v_fma_f64 v[10:11], v[12:13], s[2:3], v[14:15]
	v_fma_f64 v[12:13], v[58:59], s[10:11], v[0:1]
	v_fma_f64 v[0:1], v[58:59], s[10:11], v[48:49]
	ds_store_b128 v68, v[16:19] offset:2400
	v_add_f64 v[6:7], v[71:72], -v[75:76]
	v_add_f64 v[4:5], v[69:70], v[73:74]
	ds_store_b128 v68, v[8:11] offset:4000
	v_fma_f64 v[102:103], v[50:51], 2.0, -v[12:13]
	v_fma_f64 v[14:15], v[56:57], s[2:3], v[0:1]
	v_fma_f64 v[0:1], v[12:13], s[18:19], v[98:99]
	v_fma_f64 v[22:23], v[71:72], 2.0, -v[6:7]
	v_fma_f64 v[20:21], v[69:70], 2.0, -v[4:5]
	ds_store_b128 v68, v[4:7] offset:4800
	v_fma_f64 v[4:5], v[44:45], 2.0, -v[50:51]
	v_fma_f64 v[6:7], v[52:53], 2.0, -v[56:57]
	v_fma_f64 v[2:3], v[14:15], s[18:19], v[100:101]
	v_fma_f64 v[0:1], v[14:15], s[14:15], v[0:1]
	s_delay_alu instid0(VALU_DEP_3) | instskip(NEXT) | instid1(VALU_DEP_3)
	v_fma_f64 v[40:41], v[6:7], s[2:3], v[4:5]
	v_fma_f64 v[2:3], v[12:13], s[16:17], v[2:3]
	v_fma_f64 v[12:13], v[48:49], 2.0, -v[14:15]
	v_fma_f64 v[14:15], v[102:103], s[16:17], v[104:105]
	v_fma_f64 v[16:17], v[98:99], 2.0, -v[0:1]
	v_fma_f64 v[40:41], v[38:39], s[10:11], v[40:41]
	v_fma_f64 v[38:39], v[38:39], s[2:3], v[36:37]
	;; [unrolled: 1-line block ×4, first 2 shown]
	v_fma_f64 v[18:19], v[100:101], 2.0, -v[2:3]
	s_delay_alu instid0(VALU_DEP_4)
	v_fma_f64 v[38:39], v[6:7], s[2:3], v[38:39]
	v_fma_f64 v[6:7], v[34:35], s[2:3], v[26:27]
	;; [unrolled: 1-line block ×3, first 2 shown]
	ds_store_b128 v68, v[16:19] offset:2800
	v_fma_f64 v[16:17], v[90:91], 2.0, -v[8:9]
	v_fma_f64 v[18:19], v[92:93], 2.0, -v[10:11]
	;; [unrolled: 1-line block ×4, first 2 shown]
	v_fma_f64 v[42:43], v[32:33], s[2:3], v[6:7]
	ds_store_b128 v68, v[12:15] offset:4400
	v_fma_f64 v[6:7], v[32:33], s[2:3], v[24:25]
	v_fma_f64 v[10:11], v[106:107], 2.0, -v[14:15]
	s_delay_alu instid0(VALU_DEP_2) | instskip(SKIP_2) | instid1(VALU_DEP_3)
	v_fma_f64 v[32:33], v[34:35], s[10:11], v[6:7]
	v_fma_f64 v[34:35], v[4:5], 2.0, -v[40:41]
	v_fma_f64 v[4:5], v[38:39], s[14:15], v[42:43]
	v_fma_f64 v[44:45], v[40:41], s[14:15], v[32:33]
	s_delay_alu instid0(VALU_DEP_2) | instskip(SKIP_1) | instid1(VALU_DEP_3)
	v_fma_f64 v[6:7], v[40:41], s[12:13], v[4:5]
	v_fma_f64 v[40:41], v[26:27], 2.0, -v[42:43]
	v_fma_f64 v[4:5], v[38:39], s[18:19], v[44:45]
	v_fma_f64 v[38:39], v[24:25], 2.0, -v[32:33]
	s_delay_alu instid0(VALU_DEP_4)
	v_fma_f64 v[14:15], v[42:43], 2.0, -v[6:7]
	ds_store_b128 v68, v[4:7] offset:5200
	ds_store_b128 v68, v[20:23] offset:1600
	v_fma_f64 v[12:13], v[32:33], 2.0, -v[4:5]
	v_fma_f64 v[20:21], v[28:29], 2.0, -v[69:70]
	;; [unrolled: 1-line block ×5, first 2 shown]
	v_fma_f64 v[24:25], v[34:35], s[12:13], v[38:39]
	v_fma_f64 v[26:27], v[36:37], s[12:13], v[40:41]
	v_add_nc_u32_e32 v71, 0x960, v82
	v_add_nc_u32_e32 v70, 0xe10, v82
	;; [unrolled: 1-line block ×3, first 2 shown]
	v_add_f64 v[4:5], v[20:21], -v[4:5]
	v_add_f64 v[6:7], v[22:23], -v[6:7]
	v_fma_f64 v[24:25], v[36:37], s[14:15], v[24:25]
	v_fma_f64 v[26:27], v[34:35], s[16:17], v[26:27]
	s_delay_alu instid0(VALU_DEP_4) | instskip(NEXT) | instid1(VALU_DEP_4)
	v_fma_f64 v[20:21], v[20:21], 2.0, -v[4:5]
	v_fma_f64 v[22:23], v[22:23], 2.0, -v[6:7]
	s_delay_alu instid0(VALU_DEP_4) | instskip(NEXT) | instid1(VALU_DEP_4)
	v_fma_f64 v[28:29], v[38:39], 2.0, -v[24:25]
	v_fma_f64 v[30:31], v[40:41], 2.0, -v[26:27]
	ds_store_b128 v68, v[0:3] offset:6000
	ds_store_b128 v68, v[4:7] offset:3200
	ds_store_b128 v68, v[16:19] offset:800
	ds_store_b128 v68, v[8:11] offset:1200
	ds_store_b128 v68, v[12:15] offset:2000
	ds_store_b128 v68, v[24:27] offset:3600
	ds_store_b128 v68, v[20:23]
	ds_store_b128 v68, v[28:31] offset:400
	s_waitcnt lgkmcnt(0)
	s_barrier
	buffer_gl0_inv
	ds_load_b128 v[20:23], v82
	ds_load_b128 v[12:15], v82 offset:1200
	ds_load_b128 v[56:59], v82 offset:12800
	;; [unrolled: 1-line block ×14, first 2 shown]
	s_and_saveexec_b32 s1, s0
	s_cbranch_execz .LBB0_27
; %bb.26:
	ds_load_b128 v[0:3], v82 offset:6000
	ds_load_b128 v[132:135], v82 offset:12400
	ds_load_b128 v[136:139], v82 offset:18800
.LBB0_27:
	s_or_b32 exec_lo, exec_lo, s1
	scratch_load_b128 v[114:117], off, off offset:352 ; 16-byte Folded Reload
	s_waitcnt lgkmcnt(12)
	v_mul_f64 v[74:75], v[66:67], v[58:59]
	v_mul_f64 v[66:67], v[66:67], v[56:57]
	s_waitcnt lgkmcnt(10)
	v_mul_f64 v[78:79], v[154:155], v[50:51]
	v_mul_f64 v[84:85], v[158:159], v[42:43]
	;; [unrolled: 1-line block ×4, first 2 shown]
	s_waitcnt lgkmcnt(9)
	v_mul_f64 v[90:91], v[210:211], v[30:31]
	s_waitcnt lgkmcnt(6)
	v_mul_f64 v[92:93], v[214:215], v[46:47]
	v_mul_f64 v[94:95], v[210:211], v[28:29]
	;; [unrolled: 1-line block ×3, first 2 shown]
	s_waitcnt lgkmcnt(2)
	v_mul_f64 v[98:99], v[218:219], v[54:55]
	v_mul_f64 v[100:101], v[222:223], v[26:27]
	;; [unrolled: 1-line block ×4, first 2 shown]
	s_waitcnt lgkmcnt(1)
	v_mul_f64 v[106:107], v[226:227], v[34:35]
	s_waitcnt lgkmcnt(0)
	v_mul_f64 v[108:109], v[230:231], v[38:39]
	v_mul_f64 v[110:111], v[226:227], v[32:33]
	;; [unrolled: 1-line block ×3, first 2 shown]
	s_mov_b32 s2, 0xe8584caa
	s_mov_b32 s3, 0xbfebb67a
	;; [unrolled: 1-line block ×4, first 2 shown]
	v_fma_f64 v[56:57], v[64:65], v[56:57], v[74:75]
	v_fma_f64 v[58:59], v[64:65], v[58:59], -v[66:67]
	v_fma_f64 v[48:49], v[152:153], v[48:49], v[78:79]
	v_fma_f64 v[40:41], v[156:157], v[40:41], v[84:85]
	v_fma_f64 v[50:51], v[152:153], v[50:51], -v[86:87]
	v_fma_f64 v[42:43], v[156:157], v[42:43], -v[88:89]
	v_fma_f64 v[28:29], v[208:209], v[28:29], v[90:91]
	v_fma_f64 v[44:45], v[212:213], v[44:45], v[92:93]
	v_fma_f64 v[30:31], v[208:209], v[30:31], -v[94:95]
	;; [unrolled: 4-line block ×4, first 2 shown]
	v_fma_f64 v[38:39], v[228:229], v[38:39], -v[112:113]
	v_add_f64 v[96:97], v[12:13], v[48:49]
	v_add_f64 v[98:99], v[14:15], v[50:51]
	;; [unrolled: 1-line block ×3, first 2 shown]
	v_add_f64 v[50:51], v[50:51], -v[42:43]
	v_add_f64 v[100:101], v[16:17], v[28:29]
	v_add_f64 v[102:103], v[18:19], v[30:31]
	;; [unrolled: 1-line block ×11, first 2 shown]
	v_add_f64 v[112:113], v[30:31], -v[46:47]
	v_add_f64 v[54:55], v[54:55], -v[26:27]
	;; [unrolled: 1-line block ×4, first 2 shown]
	v_fma_f64 v[74:75], v[74:75], -0.5, v[14:15]
	v_add_f64 v[14:15], v[102:103], v[46:47]
	v_fma_f64 v[78:79], v[78:79], -0.5, v[18:19]
	v_fma_f64 v[84:85], v[84:85], -0.5, v[8:9]
	v_add_f64 v[18:19], v[106:107], v[26:27]
	v_fma_f64 v[86:87], v[86:87], -0.5, v[10:11]
	v_add_f64 v[8:9], v[96:97], v[40:41]
	;; [unrolled: 2-line block ×3, first 2 shown]
	v_fma_f64 v[90:91], v[90:91], -0.5, v[6:7]
	s_waitcnt vmcnt(0)
	v_mul_f64 v[72:73], v[116:117], v[62:63]
	v_mul_f64 v[76:77], v[116:117], v[60:61]
	v_add_f64 v[116:117], v[52:53], -v[24:25]
	v_fma_f64 v[52:53], v[54:55], s[10:11], v[84:85]
	s_delay_alu instid0(VALU_DEP_4) | instskip(NEXT) | instid1(VALU_DEP_4)
	v_fma_f64 v[60:61], v[114:115], v[60:61], v[72:73]
	v_fma_f64 v[62:63], v[114:115], v[62:63], -v[76:77]
	v_add_f64 v[72:73], v[48:49], v[40:41]
	v_add_f64 v[76:77], v[28:29], v[44:45]
	v_add_f64 v[48:49], v[48:49], -v[40:41]
	v_add_f64 v[114:115], v[28:29], -v[44:45]
	v_add_f64 v[64:65], v[60:61], v[56:57]
	v_add_f64 v[66:67], v[62:63], v[58:59]
	;; [unrolled: 1-line block ×3, first 2 shown]
	v_add_f64 v[94:95], v[62:63], -v[58:59]
	v_add_f64 v[62:63], v[22:23], v[62:63]
	v_add_f64 v[60:61], v[60:61], -v[56:57]
	v_fma_f64 v[72:73], v[72:73], -0.5, v[12:13]
	v_fma_f64 v[76:77], v[76:77], -0.5, v[16:17]
	v_add_f64 v[16:17], v[104:105], v[24:25]
	v_fma_f64 v[34:35], v[48:49], s[10:11], v[74:75]
	v_add_f64 v[12:13], v[100:101], v[44:45]
	v_fma_f64 v[42:43], v[114:115], s[10:11], v[78:79]
	v_fma_f64 v[46:47], v[114:115], s[2:3], v[78:79]
	v_fma_f64 v[64:65], v[64:65], -0.5, v[20:21]
	v_fma_f64 v[66:67], v[66:67], -0.5, v[22:23]
	v_add_f64 v[4:5], v[92:93], v[56:57]
	v_add_f64 v[20:21], v[108:109], v[36:37]
	;; [unrolled: 1-line block ×4, first 2 shown]
	v_fma_f64 v[32:33], v[50:51], s[2:3], v[72:73]
	v_fma_f64 v[36:37], v[50:51], s[10:11], v[72:73]
	;; [unrolled: 1-line block ×16, first 2 shown]
	ds_store_b128 v82, v[4:7]
	ds_store_b128 v83, v[24:27] offset:6400
	ds_store_b128 v83, v[28:31] offset:12800
	;; [unrolled: 1-line block ×14, first 2 shown]
	s_and_saveexec_b32 s1, s0
	s_cbranch_execz .LBB0_29
; %bb.28:
	s_clause 0x1
	scratch_load_b128 v[12:15], off, off offset:372
	scratch_load_b128 v[16:19], off, off offset:388
	s_waitcnt vmcnt(1)
	v_mul_f64 v[4:5], v[14:15], v[132:133]
	s_waitcnt vmcnt(0)
	v_mul_f64 v[6:7], v[18:19], v[136:137]
	v_mul_f64 v[8:9], v[14:15], v[134:135]
	;; [unrolled: 1-line block ×3, first 2 shown]
	s_delay_alu instid0(VALU_DEP_4) | instskip(NEXT) | instid1(VALU_DEP_4)
	v_fma_f64 v[4:5], v[12:13], v[134:135], -v[4:5]
	v_fma_f64 v[6:7], v[16:17], v[138:139], -v[6:7]
	s_delay_alu instid0(VALU_DEP_4) | instskip(NEXT) | instid1(VALU_DEP_4)
	v_fma_f64 v[8:9], v[12:13], v[132:133], v[8:9]
	v_fma_f64 v[10:11], v[16:17], v[136:137], v[10:11]
	s_delay_alu instid0(VALU_DEP_4) | instskip(NEXT) | instid1(VALU_DEP_4)
	v_add_f64 v[18:19], v[2:3], v[4:5]
	v_add_f64 v[12:13], v[4:5], v[6:7]
	v_add_f64 v[4:5], v[4:5], -v[6:7]
	s_delay_alu instid0(VALU_DEP_4)
	v_add_f64 v[14:15], v[8:9], v[10:11]
	v_add_f64 v[16:17], v[8:9], -v[10:11]
	v_add_f64 v[8:9], v[0:1], v[8:9]
	v_fma_f64 v[12:13], v[12:13], -0.5, v[2:3]
	v_add_f64 v[2:3], v[18:19], v[6:7]
	v_fma_f64 v[14:15], v[14:15], -0.5, v[0:1]
	s_delay_alu instid0(VALU_DEP_4) | instskip(NEXT) | instid1(VALU_DEP_4)
	v_add_f64 v[0:1], v[8:9], v[10:11]
	v_fma_f64 v[10:11], v[16:17], s[10:11], v[12:13]
	v_fma_f64 v[6:7], v[16:17], s[2:3], v[12:13]
	s_delay_alu instid0(VALU_DEP_4)
	v_fma_f64 v[8:9], v[4:5], s[2:3], v[14:15]
	v_fma_f64 v[4:5], v[4:5], s[10:11], v[14:15]
	ds_store_b128 v82, v[0:3] offset:6000
	ds_store_b128 v82, v[8:11] offset:12400
	;; [unrolled: 1-line block ×3, first 2 shown]
.LBB0_29:
	s_or_b32 exec_lo, exec_lo, s1
	s_waitcnt lgkmcnt(0)
	s_barrier
	buffer_gl0_inv
	ds_load_b128 v[0:3], v82
	ds_load_b128 v[4:7], v82 offset:3840
	ds_load_b128 v[8:11], v82 offset:7680
	;; [unrolled: 1-line block ×7, first 2 shown]
	s_clause 0x2
	scratch_load_b128 v[98:101], off, off offset:24
	scratch_load_b64 v[32:33], off, off offset:16
	scratch_load_b32 v87, off, off
	s_mul_i32 s1, s5, 0xf0
	s_mul_i32 s0, s4, 0xf0
	s_mov_b32 s2, 0xb4e81b4f
	s_mov_b32 s3, 0x3f4b4e81
	ds_load_b128 v[36:39], v82 offset:5040
	s_waitcnt vmcnt(2) lgkmcnt(8)
	v_mul_f64 v[60:61], v[100:101], v[2:3]
	v_mul_f64 v[62:63], v[100:101], v[0:1]
	scratch_load_b128 v[100:103], off, off offset:80 ; 16-byte Folded Reload
	s_waitcnt vmcnt(2)
	v_mov_b32_e32 v86, v32
	ds_load_b128 v[32:35], v82 offset:15360
	s_waitcnt vmcnt(1)
	v_mad_u64_u32 v[78:79], null, s4, v87, 0
	v_mad_u64_u32 v[76:77], null, s6, v86, 0
	s_mul_hi_u32 s6, s4, 0xf0
	s_delay_alu instid0(SALU_CYCLE_1) | instskip(NEXT) | instid1(SALU_CYCLE_1)
	s_add_i32 s1, s6, s1
	s_lshl_b64 s[10:11], s[0:1], 4
	s_mul_i32 s1, s5, 0xfffffc8b
	s_delay_alu instid0(VALU_DEP_1) | instskip(NEXT) | instid1(VALU_DEP_3)
	v_mad_u64_u32 v[84:85], null, s7, v86, v[77:78]
	v_mad_u64_u32 v[85:86], null, s5, v87, v[79:80]
	s_delay_alu instid0(VALU_DEP_2) | instskip(NEXT) | instid1(VALU_DEP_2)
	v_mov_b32_e32 v77, v84
	v_mov_b32_e32 v79, v85
	s_delay_alu instid0(VALU_DEP_2) | instskip(NEXT) | instid1(VALU_DEP_2)
	v_lshlrev_b64 v[76:77], 4, v[76:77]
	v_lshlrev_b64 v[78:79], 4, v[78:79]
	s_delay_alu instid0(VALU_DEP_2) | instskip(NEXT) | instid1(VALU_DEP_1)
	v_add_co_u32 v110, s0, s8, v76
	v_add_co_ci_u32_e64 v111, s0, s9, v77, s0
	v_fma_f64 v[0:1], v[98:99], v[0:1], v[60:61]
	v_fma_f64 v[2:3], v[98:99], v[2:3], -v[62:63]
	s_delay_alu instid0(VALU_DEP_4) | instskip(NEXT) | instid1(VALU_DEP_1)
	v_add_co_u32 v78, s0, v110, v78
	v_add_co_ci_u32_e64 v79, s0, v111, v79, s0
	s_delay_alu instid0(VALU_DEP_4) | instskip(NEXT) | instid1(VALU_DEP_4)
	v_mul_f64 v[0:1], v[0:1], s[2:3]
	v_mul_f64 v[2:3], v[2:3], s[2:3]
	s_waitcnt vmcnt(0) lgkmcnt(8)
	v_mul_f64 v[64:65], v[102:103], v[6:7]
	v_mul_f64 v[66:67], v[102:103], v[4:5]
	scratch_load_b128 v[102:105], off, off offset:224 ; 16-byte Folded Reload
	v_fma_f64 v[4:5], v[100:101], v[4:5], v[64:65]
	v_fma_f64 v[6:7], v[100:101], v[6:7], -v[66:67]
	s_delay_alu instid0(VALU_DEP_2) | instskip(NEXT) | instid1(VALU_DEP_2)
	v_mul_f64 v[4:5], v[4:5], s[2:3]
	v_mul_f64 v[6:7], v[6:7], s[2:3]
	s_waitcnt vmcnt(0) lgkmcnt(7)
	v_mul_f64 v[68:69], v[104:105], v[10:11]
	v_mul_f64 v[70:71], v[104:105], v[8:9]
	scratch_load_b128 v[104:107], off, off offset:240 ; 16-byte Folded Reload
	ds_load_b128 v[40:43], v82 offset:16560
	ds_load_b128 v[44:47], v82 offset:6240
	;; [unrolled: 1-line block ×5, first 2 shown]
	s_clause 0x5
	scratch_load_b128 v[132:135], off, off offset:176
	scratch_load_b128 v[142:145], off, off offset:272
	;; [unrolled: 1-line block ×6, first 2 shown]
	v_fma_f64 v[8:9], v[102:103], v[8:9], v[68:69]
	v_fma_f64 v[10:11], v[102:103], v[10:11], -v[70:71]
	s_delay_alu instid0(VALU_DEP_2) | instskip(NEXT) | instid1(VALU_DEP_2)
	v_mul_f64 v[8:9], v[8:9], s[2:3]
	v_mul_f64 v[10:11], v[10:11], s[2:3]
	s_waitcnt vmcnt(6) lgkmcnt(11)
	v_mul_f64 v[72:73], v[106:107], v[14:15]
	v_mul_f64 v[74:75], v[106:107], v[12:13]
	s_waitcnt vmcnt(5) lgkmcnt(5)
	v_mul_f64 v[86:87], v[134:135], v[34:35]
	v_mul_f64 v[88:89], v[134:135], v[32:33]
	scratch_load_b128 v[134:137], off, off offset:192 ; 16-byte Folded Reload
	s_waitcnt vmcnt(4)
	v_mul_f64 v[90:91], v[114:115], v[18:19]
	v_mul_f64 v[92:93], v[114:115], v[16:17]
	scratch_load_b128 v[114:117], off, off offset:96 ; 16-byte Folded Reload
	s_waitcnt vmcnt(3)
	;; [unrolled: 4-line block ×3, first 2 shown]
	v_mul_f64 v[94:95], v[130:131], v[38:39]
	v_mul_f64 v[96:97], v[130:131], v[36:37]
	s_waitcnt lgkmcnt(2)
	v_mul_f64 v[64:65], v[120:121], v[50:51]
	v_mul_f64 v[66:67], v[120:121], v[48:49]
	s_waitcnt lgkmcnt(1)
	v_mul_f64 v[84:85], v[144:145], v[54:55]
	v_mul_f64 v[106:107], v[144:145], v[52:53]
	v_fma_f64 v[12:13], v[104:105], v[12:13], v[72:73]
	v_fma_f64 v[14:15], v[104:105], v[14:15], -v[74:75]
	v_fma_f64 v[32:33], v[132:133], v[32:33], v[86:87]
	v_fma_f64 v[34:35], v[132:133], v[34:35], -v[88:89]
	v_add_co_u32 v86, s0, v78, s10
	v_fma_f64 v[88:89], v[112:113], v[16:17], v[90:91]
	v_fma_f64 v[92:93], v[112:113], v[18:19], -v[92:93]
	v_fma_f64 v[20:21], v[122:123], v[20:21], v[60:61]
	v_fma_f64 v[22:23], v[122:123], v[22:23], -v[62:63]
	v_add_co_ci_u32_e64 v87, s0, s11, v79, s0
	v_fma_f64 v[36:37], v[128:129], v[36:37], v[94:95]
	v_fma_f64 v[38:39], v[128:129], v[38:39], -v[96:97]
	v_fma_f64 v[48:49], v[118:119], v[48:49], v[64:65]
	v_fma_f64 v[50:51], v[118:119], v[50:51], -v[66:67]
	v_add_co_u32 v90, s0, v86, s10
	v_fma_f64 v[52:53], v[142:143], v[52:53], v[84:85]
	v_fma_f64 v[54:55], v[142:143], v[54:55], -v[106:107]
	v_add_co_ci_u32_e64 v91, s0, s11, v87, s0
	s_delay_alu instid0(VALU_DEP_4) | instskip(NEXT) | instid1(VALU_DEP_1)
	v_add_co_u32 v110, s0, v90, s10
	v_add_co_ci_u32_e64 v111, s0, s11, v91, s0
	s_delay_alu instid0(VALU_DEP_2) | instskip(NEXT) | instid1(VALU_DEP_1)
	v_add_co_u32 v94, s0, v110, s10
	v_add_co_ci_u32_e64 v95, s0, s11, v111, s0
	s_mul_hi_u32 s0, s4, 0xfffffc8b
	s_delay_alu instid0(SALU_CYCLE_1) | instskip(NEXT) | instid1(SALU_CYCLE_1)
	s_sub_i32 s0, s0, s4
	s_add_i32 s1, s0, s1
	s_mul_i32 s0, s4, 0xfffffc8b
	v_mul_f64 v[12:13], v[12:13], s[2:3]
	v_mul_f64 v[14:15], v[14:15], s[2:3]
	;; [unrolled: 1-line block ×4, first 2 shown]
	s_lshl_b64 s[4:5], s[0:1], 4
	s_delay_alu instid0(SALU_CYCLE_1) | instskip(NEXT) | instid1(VALU_DEP_1)
	v_add_co_u32 v64, s0, v94, s4
	v_add_co_ci_u32_e64 v65, s0, s5, v95, s0
	s_delay_alu instid0(VALU_DEP_2) | instskip(NEXT) | instid1(VALU_DEP_1)
	v_add_co_u32 v66, s0, v64, s10
	v_add_co_ci_u32_e64 v67, s0, s11, v65, s0
	s_waitcnt vmcnt(2)
	v_mul_f64 v[98:99], v[136:137], v[46:47]
	v_mul_f64 v[100:101], v[136:137], v[44:45]
	scratch_load_b128 v[136:139], off, off offset:208 ; 16-byte Folded Reload
	s_waitcnt vmcnt(2)
	v_mul_f64 v[72:73], v[116:117], v[26:27]
	v_mul_f64 v[74:75], v[116:117], v[24:25]
	s_waitcnt vmcnt(1)
	v_mul_f64 v[68:69], v[126:127], v[42:43]
	v_mul_f64 v[70:71], v[126:127], v[40:41]
	v_fma_f64 v[44:45], v[134:135], v[44:45], v[98:99]
	v_fma_f64 v[46:47], v[134:135], v[46:47], -v[100:101]
	v_fma_f64 v[24:25], v[114:115], v[24:25], v[72:73]
	v_fma_f64 v[26:27], v[114:115], v[26:27], -v[74:75]
	;; [unrolled: 2-line block ×3, first 2 shown]
	s_delay_alu instid0(VALU_DEP_4) | instskip(NEXT) | instid1(VALU_DEP_4)
	v_mul_f64 v[24:25], v[24:25], s[2:3]
	v_mul_f64 v[26:27], v[26:27], s[2:3]
	s_waitcnt vmcnt(0)
	v_mul_f64 v[102:103], v[138:139], v[30:31]
	v_mul_f64 v[104:105], v[138:139], v[28:29]
	scratch_load_b128 v[138:141], off, off offset:256 ; 16-byte Folded Reload
	s_clause 0x3
	global_store_b128 v[78:79], v[0:3], off
	global_store_b128 v[86:87], v[4:7], off
	;; [unrolled: 1-line block ×4, first 2 shown]
	v_mul_f64 v[0:1], v[88:89], s[2:3]
	v_mul_f64 v[2:3], v[92:93], s[2:3]
	;; [unrolled: 1-line block ×7, first 2 shown]
	v_add_co_u32 v48, s0, v66, s10
	s_delay_alu instid0(VALU_DEP_1)
	v_add_co_ci_u32_e64 v49, s0, s11, v67, s0
	v_mul_f64 v[14:15], v[50:51], s[2:3]
	v_mul_f64 v[20:21], v[40:41], s[2:3]
	;; [unrolled: 1-line block ×5, first 2 shown]
	global_store_b128 v[94:95], v[16:19], off
	v_fma_f64 v[60:61], v[136:137], v[28:29], v[102:103]
	v_fma_f64 v[62:63], v[136:137], v[30:31], -v[104:105]
	v_mul_f64 v[28:29], v[44:45], s[2:3]
	v_mul_f64 v[30:31], v[46:47], s[2:3]
	v_add_co_u32 v44, s0, v48, s10
	s_delay_alu instid0(VALU_DEP_1) | instskip(SKIP_2) | instid1(VALU_DEP_1)
	v_add_co_ci_u32_e64 v45, s0, s11, v49, s0
	global_store_b128 v[64:65], v[0:3], off
	v_add_co_u32 v16, s0, v44, s10
	v_add_co_ci_u32_e64 v17, s0, s11, v45, s0
	global_store_b128 v[66:67], v[4:7], off
	v_add_co_u32 v2, s0, v16, s4
	s_delay_alu instid0(VALU_DEP_1) | instskip(SKIP_2) | instid1(VALU_DEP_1)
	v_add_co_ci_u32_e64 v3, s0, s5, v17, s0
	global_store_b128 v[48:49], v[8:11], off
	v_add_co_u32 v4, s0, v2, s10
	v_add_co_ci_u32_e64 v5, s0, s11, v3, s0
	global_store_b128 v[44:45], v[12:15], off
	v_add_co_u32 v6, s0, v4, s10
	s_delay_alu instid0(VALU_DEP_1) | instskip(SKIP_2) | instid1(VALU_DEP_1)
	v_add_co_ci_u32_e64 v7, s0, s11, v5, s0
	global_store_b128 v[16:17], v[20:23], off
	v_add_co_u32 v8, s0, v6, s10
	v_add_co_ci_u32_e64 v9, s0, s11, v7, s0
	s_delay_alu instid0(VALU_DEP_2) | instskip(NEXT) | instid1(VALU_DEP_1)
	v_add_co_u32 v0, s0, v8, s10
	v_add_co_ci_u32_e64 v1, s0, s11, v9, s0
	v_mul_f64 v[32:33], v[60:61], s[2:3]
	v_mul_f64 v[34:35], v[62:63], s[2:3]
	s_waitcnt vmcnt(0) lgkmcnt(0)
	v_mul_f64 v[108:109], v[140:141], v[58:59]
	v_mul_f64 v[76:77], v[140:141], v[56:57]
	s_delay_alu instid0(VALU_DEP_2) | instskip(NEXT) | instid1(VALU_DEP_2)
	v_fma_f64 v[56:57], v[138:139], v[56:57], v[108:109]
	v_fma_f64 v[58:59], v[138:139], v[58:59], -v[76:77]
	s_delay_alu instid0(VALU_DEP_2) | instskip(NEXT) | instid1(VALU_DEP_2)
	v_mul_f64 v[40:41], v[56:57], s[2:3]
	v_mul_f64 v[42:43], v[58:59], s[2:3]
	global_store_b128 v[2:3], v[24:27], off
	global_store_b128 v[4:5], v[28:31], off
	;; [unrolled: 1-line block ×5, first 2 shown]
	s_and_b32 exec_lo, exec_lo, vcc_lo
	s_cbranch_execz .LBB0_31
; %bb.30:
	global_load_b128 v[2:5], v[80:81], off offset:3600
	v_add_co_u32 v12, vcc_lo, v0, s4
	v_add_co_ci_u32_e32 v13, vcc_lo, s5, v1, vcc_lo
	scratch_load_b64 v[0:1], off, off offset:72 ; 8-byte Folded Reload
	ds_load_b128 v[6:9], v83 offset:3600
	s_waitcnt vmcnt(1) lgkmcnt(0)
	v_mul_f64 v[10:11], v[8:9], v[4:5]
	v_mul_f64 v[4:5], v[6:7], v[4:5]
	s_delay_alu instid0(VALU_DEP_2) | instskip(NEXT) | instid1(VALU_DEP_2)
	v_fma_f64 v[6:7], v[6:7], v[2:3], v[10:11]
	v_fma_f64 v[4:5], v[2:3], v[8:9], -v[4:5]
	s_delay_alu instid0(VALU_DEP_2) | instskip(NEXT) | instid1(VALU_DEP_2)
	v_mul_f64 v[2:3], v[6:7], s[2:3]
	v_mul_f64 v[4:5], v[4:5], s[2:3]
	global_store_b128 v[12:13], v[2:5], off
	s_waitcnt vmcnt(0)
	global_load_b128 v[0:3], v[0:1], off offset:3344
	ds_load_b128 v[4:7], v82 offset:7440
	ds_load_b128 v[8:11], v82 offset:11280
	s_waitcnt vmcnt(0) lgkmcnt(1)
	v_mul_f64 v[14:15], v[6:7], v[2:3]
	v_mul_f64 v[2:3], v[4:5], v[2:3]
	s_delay_alu instid0(VALU_DEP_2) | instskip(NEXT) | instid1(VALU_DEP_2)
	v_fma_f64 v[4:5], v[4:5], v[0:1], v[14:15]
	v_fma_f64 v[2:3], v[0:1], v[6:7], -v[2:3]
	s_delay_alu instid0(VALU_DEP_2) | instskip(NEXT) | instid1(VALU_DEP_2)
	v_mul_f64 v[0:1], v[4:5], s[2:3]
	v_mul_f64 v[2:3], v[2:3], s[2:3]
	v_add_co_u32 v4, vcc_lo, v12, s10
	v_add_co_ci_u32_e32 v5, vcc_lo, s11, v13, vcc_lo
	s_delay_alu instid0(VALU_DEP_2) | instskip(NEXT) | instid1(VALU_DEP_2)
	v_add_co_u32 v12, vcc_lo, v4, s10
	v_add_co_ci_u32_e32 v13, vcc_lo, s11, v5, vcc_lo
	global_store_b128 v[4:5], v[0:3], off
	scratch_load_b64 v[0:1], off, off offset:48 ; 8-byte Folded Reload
	s_waitcnt vmcnt(0)
	global_load_b128 v[0:3], v[0:1], off offset:3088
	s_waitcnt vmcnt(0) lgkmcnt(0)
	v_mul_f64 v[6:7], v[10:11], v[2:3]
	v_mul_f64 v[2:3], v[8:9], v[2:3]
	s_delay_alu instid0(VALU_DEP_2) | instskip(NEXT) | instid1(VALU_DEP_2)
	v_fma_f64 v[6:7], v[8:9], v[0:1], v[6:7]
	v_fma_f64 v[2:3], v[0:1], v[10:11], -v[2:3]
	s_delay_alu instid0(VALU_DEP_2) | instskip(NEXT) | instid1(VALU_DEP_2)
	v_mul_f64 v[0:1], v[6:7], s[2:3]
	v_mul_f64 v[2:3], v[2:3], s[2:3]
	global_store_b128 v[12:13], v[0:3], off
	scratch_load_b64 v[0:1], off, off offset:40 ; 8-byte Folded Reload
	s_waitcnt vmcnt(0)
	global_load_b128 v[0:3], v[0:1], off offset:2832
	ds_load_b128 v[4:7], v82 offset:15120
	ds_load_b128 v[8:11], v82 offset:18960
	s_waitcnt vmcnt(0) lgkmcnt(1)
	v_mul_f64 v[14:15], v[6:7], v[2:3]
	v_mul_f64 v[2:3], v[4:5], v[2:3]
	s_delay_alu instid0(VALU_DEP_2) | instskip(NEXT) | instid1(VALU_DEP_2)
	v_fma_f64 v[4:5], v[4:5], v[0:1], v[14:15]
	v_fma_f64 v[2:3], v[0:1], v[6:7], -v[2:3]
	s_delay_alu instid0(VALU_DEP_2) | instskip(NEXT) | instid1(VALU_DEP_2)
	v_mul_f64 v[0:1], v[4:5], s[2:3]
	v_mul_f64 v[2:3], v[2:3], s[2:3]
	v_add_co_u32 v4, vcc_lo, v12, s10
	v_add_co_ci_u32_e32 v5, vcc_lo, s11, v13, vcc_lo
	global_store_b128 v[4:5], v[0:3], off
	scratch_load_b64 v[0:1], off, off offset:4 ; 8-byte Folded Reload
	v_add_co_u32 v4, vcc_lo, v4, s10
	v_add_co_ci_u32_e32 v5, vcc_lo, s11, v5, vcc_lo
	s_waitcnt vmcnt(0)
	global_load_b128 v[0:3], v[0:1], off offset:2576
	s_waitcnt vmcnt(0) lgkmcnt(0)
	v_mul_f64 v[6:7], v[10:11], v[2:3]
	v_mul_f64 v[2:3], v[8:9], v[2:3]
	s_delay_alu instid0(VALU_DEP_2) | instskip(NEXT) | instid1(VALU_DEP_2)
	v_fma_f64 v[6:7], v[8:9], v[0:1], v[6:7]
	v_fma_f64 v[2:3], v[0:1], v[10:11], -v[2:3]
	s_delay_alu instid0(VALU_DEP_2) | instskip(NEXT) | instid1(VALU_DEP_2)
	v_mul_f64 v[0:1], v[6:7], s[2:3]
	v_mul_f64 v[2:3], v[2:3], s[2:3]
	global_store_b128 v[4:5], v[0:3], off
.LBB0_31:
	s_nop 0
	s_sendmsg sendmsg(MSG_DEALLOC_VGPRS)
	s_endpgm
	.section	.rodata,"a",@progbits
	.p2align	6, 0x0
	.amdhsa_kernel bluestein_single_fwd_len1200_dim1_dp_op_CI_CI
		.amdhsa_group_segment_fixed_size 57600
		.amdhsa_private_segment_fixed_size 408
		.amdhsa_kernarg_size 104
		.amdhsa_user_sgpr_count 15
		.amdhsa_user_sgpr_dispatch_ptr 0
		.amdhsa_user_sgpr_queue_ptr 0
		.amdhsa_user_sgpr_kernarg_segment_ptr 1
		.amdhsa_user_sgpr_dispatch_id 0
		.amdhsa_user_sgpr_private_segment_size 0
		.amdhsa_wavefront_size32 1
		.amdhsa_uses_dynamic_stack 0
		.amdhsa_enable_private_segment 1
		.amdhsa_system_sgpr_workgroup_id_x 1
		.amdhsa_system_sgpr_workgroup_id_y 0
		.amdhsa_system_sgpr_workgroup_id_z 0
		.amdhsa_system_sgpr_workgroup_info 0
		.amdhsa_system_vgpr_workitem_id 0
		.amdhsa_next_free_vgpr 256
		.amdhsa_next_free_sgpr 20
		.amdhsa_reserve_vcc 1
		.amdhsa_float_round_mode_32 0
		.amdhsa_float_round_mode_16_64 0
		.amdhsa_float_denorm_mode_32 3
		.amdhsa_float_denorm_mode_16_64 3
		.amdhsa_dx10_clamp 1
		.amdhsa_ieee_mode 1
		.amdhsa_fp16_overflow 0
		.amdhsa_workgroup_processor_mode 1
		.amdhsa_memory_ordered 1
		.amdhsa_forward_progress 0
		.amdhsa_shared_vgpr_count 0
		.amdhsa_exception_fp_ieee_invalid_op 0
		.amdhsa_exception_fp_denorm_src 0
		.amdhsa_exception_fp_ieee_div_zero 0
		.amdhsa_exception_fp_ieee_overflow 0
		.amdhsa_exception_fp_ieee_underflow 0
		.amdhsa_exception_fp_ieee_inexact 0
		.amdhsa_exception_int_div_zero 0
	.end_amdhsa_kernel
	.text
.Lfunc_end0:
	.size	bluestein_single_fwd_len1200_dim1_dp_op_CI_CI, .Lfunc_end0-bluestein_single_fwd_len1200_dim1_dp_op_CI_CI
                                        ; -- End function
	.section	.AMDGPU.csdata,"",@progbits
; Kernel info:
; codeLenInByte = 26220
; NumSgprs: 22
; NumVgprs: 256
; ScratchSize: 408
; MemoryBound: 0
; FloatMode: 240
; IeeeMode: 1
; LDSByteSize: 57600 bytes/workgroup (compile time only)
; SGPRBlocks: 2
; VGPRBlocks: 31
; NumSGPRsForWavesPerEU: 22
; NumVGPRsForWavesPerEU: 256
; Occupancy: 4
; WaveLimiterHint : 1
; COMPUTE_PGM_RSRC2:SCRATCH_EN: 1
; COMPUTE_PGM_RSRC2:USER_SGPR: 15
; COMPUTE_PGM_RSRC2:TRAP_HANDLER: 0
; COMPUTE_PGM_RSRC2:TGID_X_EN: 1
; COMPUTE_PGM_RSRC2:TGID_Y_EN: 0
; COMPUTE_PGM_RSRC2:TGID_Z_EN: 0
; COMPUTE_PGM_RSRC2:TIDIG_COMP_CNT: 0
	.text
	.p2alignl 7, 3214868480
	.fill 96, 4, 3214868480
	.type	__hip_cuid_46e7aba12d8d237f,@object ; @__hip_cuid_46e7aba12d8d237f
	.section	.bss,"aw",@nobits
	.globl	__hip_cuid_46e7aba12d8d237f
__hip_cuid_46e7aba12d8d237f:
	.byte	0                               ; 0x0
	.size	__hip_cuid_46e7aba12d8d237f, 1

	.ident	"AMD clang version 19.0.0git (https://github.com/RadeonOpenCompute/llvm-project roc-6.4.0 25133 c7fe45cf4b819c5991fe208aaa96edf142730f1d)"
	.section	".note.GNU-stack","",@progbits
	.addrsig
	.addrsig_sym __hip_cuid_46e7aba12d8d237f
	.amdgpu_metadata
---
amdhsa.kernels:
  - .args:
      - .actual_access:  read_only
        .address_space:  global
        .offset:         0
        .size:           8
        .value_kind:     global_buffer
      - .actual_access:  read_only
        .address_space:  global
        .offset:         8
        .size:           8
        .value_kind:     global_buffer
      - .actual_access:  read_only
        .address_space:  global
        .offset:         16
        .size:           8
        .value_kind:     global_buffer
      - .actual_access:  read_only
        .address_space:  global
        .offset:         24
        .size:           8
        .value_kind:     global_buffer
      - .actual_access:  read_only
        .address_space:  global
        .offset:         32
        .size:           8
        .value_kind:     global_buffer
      - .offset:         40
        .size:           8
        .value_kind:     by_value
      - .address_space:  global
        .offset:         48
        .size:           8
        .value_kind:     global_buffer
      - .address_space:  global
        .offset:         56
        .size:           8
        .value_kind:     global_buffer
      - .address_space:  global
        .offset:         64
        .size:           8
        .value_kind:     global_buffer
      - .address_space:  global
        .offset:         72
        .size:           8
        .value_kind:     global_buffer
      - .offset:         80
        .size:           4
        .value_kind:     by_value
      - .address_space:  global
        .offset:         88
        .size:           8
        .value_kind:     global_buffer
      - .address_space:  global
        .offset:         96
        .size:           8
        .value_kind:     global_buffer
    .group_segment_fixed_size: 57600
    .kernarg_segment_align: 8
    .kernarg_segment_size: 104
    .language:       OpenCL C
    .language_version:
      - 2
      - 0
    .max_flat_workgroup_size: 225
    .name:           bluestein_single_fwd_len1200_dim1_dp_op_CI_CI
    .private_segment_fixed_size: 408
    .sgpr_count:     22
    .sgpr_spill_count: 0
    .symbol:         bluestein_single_fwd_len1200_dim1_dp_op_CI_CI.kd
    .uniform_work_group_size: 1
    .uses_dynamic_stack: false
    .vgpr_count:     256
    .vgpr_spill_count: 101
    .wavefront_size: 32
    .workgroup_processor_mode: 1
amdhsa.target:   amdgcn-amd-amdhsa--gfx1100
amdhsa.version:
  - 1
  - 2
...

	.end_amdgpu_metadata
